;; amdgpu-corpus repo=ROCm/rocFFT kind=compiled arch=gfx1201 opt=O3
	.text
	.amdgcn_target "amdgcn-amd-amdhsa--gfx1201"
	.amdhsa_code_object_version 6
	.protected	fft_rtc_fwd_len918_factors_17_9_2_3_wgs_102_tpt_102_halfLds_dp_ip_CI_unitstride_sbrr_dirReg ; -- Begin function fft_rtc_fwd_len918_factors_17_9_2_3_wgs_102_tpt_102_halfLds_dp_ip_CI_unitstride_sbrr_dirReg
	.globl	fft_rtc_fwd_len918_factors_17_9_2_3_wgs_102_tpt_102_halfLds_dp_ip_CI_unitstride_sbrr_dirReg
	.p2align	8
	.type	fft_rtc_fwd_len918_factors_17_9_2_3_wgs_102_tpt_102_halfLds_dp_ip_CI_unitstride_sbrr_dirReg,@function
fft_rtc_fwd_len918_factors_17_9_2_3_wgs_102_tpt_102_halfLds_dp_ip_CI_unitstride_sbrr_dirReg: ; @fft_rtc_fwd_len918_factors_17_9_2_3_wgs_102_tpt_102_halfLds_dp_ip_CI_unitstride_sbrr_dirReg
; %bb.0:
	s_clause 0x2
	s_load_b128 s[4:7], s[0:1], 0x0
	s_load_b64 s[8:9], s[0:1], 0x50
	s_load_b64 s[10:11], s[0:1], 0x18
	v_mul_u32_u24_e32 v1, 0x283, v0
	v_mov_b32_e32 v3, 0
	s_delay_alu instid0(VALU_DEP_2) | instskip(NEXT) | instid1(VALU_DEP_1)
	v_lshrrev_b32_e32 v1, 16, v1
	v_add_nc_u32_e32 v5, ttmp9, v1
	v_mov_b32_e32 v1, 0
	v_mov_b32_e32 v2, 0
	;; [unrolled: 1-line block ×3, first 2 shown]
	s_wait_kmcnt 0x0
	v_cmp_lt_u64_e64 s2, s[6:7], 2
	s_delay_alu instid0(VALU_DEP_1)
	s_and_b32 vcc_lo, exec_lo, s2
	s_cbranch_vccnz .LBB0_8
; %bb.1:
	s_load_b64 s[2:3], s[0:1], 0x10
	v_mov_b32_e32 v1, 0
	v_mov_b32_e32 v2, 0
	s_add_nc_u64 s[12:13], s[10:11], 8
	s_mov_b64 s[14:15], 1
	s_wait_kmcnt 0x0
	s_add_nc_u64 s[16:17], s[2:3], 8
	s_mov_b32 s3, 0
.LBB0_2:                                ; =>This Inner Loop Header: Depth=1
	s_load_b64 s[18:19], s[16:17], 0x0
                                        ; implicit-def: $vgpr7_vgpr8
	s_mov_b32 s2, exec_lo
	s_wait_kmcnt 0x0
	v_or_b32_e32 v4, s19, v6
	s_delay_alu instid0(VALU_DEP_1)
	v_cmpx_ne_u64_e32 0, v[3:4]
	s_wait_alu 0xfffe
	s_xor_b32 s20, exec_lo, s2
	s_cbranch_execz .LBB0_4
; %bb.3:                                ;   in Loop: Header=BB0_2 Depth=1
	s_cvt_f32_u32 s2, s18
	s_cvt_f32_u32 s21, s19
	s_sub_nc_u64 s[24:25], 0, s[18:19]
	s_wait_alu 0xfffe
	s_delay_alu instid0(SALU_CYCLE_1) | instskip(SKIP_1) | instid1(SALU_CYCLE_2)
	s_fmamk_f32 s2, s21, 0x4f800000, s2
	s_wait_alu 0xfffe
	v_s_rcp_f32 s2, s2
	s_delay_alu instid0(TRANS32_DEP_1) | instskip(SKIP_1) | instid1(SALU_CYCLE_2)
	s_mul_f32 s2, s2, 0x5f7ffffc
	s_wait_alu 0xfffe
	s_mul_f32 s21, s2, 0x2f800000
	s_wait_alu 0xfffe
	s_delay_alu instid0(SALU_CYCLE_2) | instskip(SKIP_1) | instid1(SALU_CYCLE_2)
	s_trunc_f32 s21, s21
	s_wait_alu 0xfffe
	s_fmamk_f32 s2, s21, 0xcf800000, s2
	s_cvt_u32_f32 s23, s21
	s_wait_alu 0xfffe
	s_delay_alu instid0(SALU_CYCLE_1) | instskip(SKIP_1) | instid1(SALU_CYCLE_2)
	s_cvt_u32_f32 s22, s2
	s_wait_alu 0xfffe
	s_mul_u64 s[26:27], s[24:25], s[22:23]
	s_wait_alu 0xfffe
	s_mul_hi_u32 s29, s22, s27
	s_mul_i32 s28, s22, s27
	s_mul_hi_u32 s2, s22, s26
	s_mul_i32 s30, s23, s26
	s_wait_alu 0xfffe
	s_add_nc_u64 s[28:29], s[2:3], s[28:29]
	s_mul_hi_u32 s21, s23, s26
	s_mul_hi_u32 s31, s23, s27
	s_add_co_u32 s2, s28, s30
	s_wait_alu 0xfffe
	s_add_co_ci_u32 s2, s29, s21
	s_mul_i32 s26, s23, s27
	s_add_co_ci_u32 s27, s31, 0
	s_wait_alu 0xfffe
	s_add_nc_u64 s[26:27], s[2:3], s[26:27]
	s_wait_alu 0xfffe
	v_add_co_u32 v4, s2, s22, s26
	s_delay_alu instid0(VALU_DEP_1) | instskip(SKIP_1) | instid1(VALU_DEP_1)
	s_cmp_lg_u32 s2, 0
	s_add_co_ci_u32 s23, s23, s27
	v_readfirstlane_b32 s22, v4
	s_wait_alu 0xfffe
	s_delay_alu instid0(VALU_DEP_1)
	s_mul_u64 s[24:25], s[24:25], s[22:23]
	s_wait_alu 0xfffe
	s_mul_hi_u32 s27, s22, s25
	s_mul_i32 s26, s22, s25
	s_mul_hi_u32 s2, s22, s24
	s_mul_i32 s28, s23, s24
	s_wait_alu 0xfffe
	s_add_nc_u64 s[26:27], s[2:3], s[26:27]
	s_mul_hi_u32 s21, s23, s24
	s_mul_hi_u32 s22, s23, s25
	s_wait_alu 0xfffe
	s_add_co_u32 s2, s26, s28
	s_add_co_ci_u32 s2, s27, s21
	s_mul_i32 s24, s23, s25
	s_add_co_ci_u32 s25, s22, 0
	s_wait_alu 0xfffe
	s_add_nc_u64 s[24:25], s[2:3], s[24:25]
	s_wait_alu 0xfffe
	v_add_co_u32 v4, s2, v4, s24
	s_delay_alu instid0(VALU_DEP_1) | instskip(SKIP_1) | instid1(VALU_DEP_1)
	s_cmp_lg_u32 s2, 0
	s_add_co_ci_u32 s2, s23, s25
	v_mul_hi_u32 v13, v5, v4
	s_wait_alu 0xfffe
	v_mad_co_u64_u32 v[7:8], null, v5, s2, 0
	v_mad_co_u64_u32 v[9:10], null, v6, v4, 0
	;; [unrolled: 1-line block ×3, first 2 shown]
	s_delay_alu instid0(VALU_DEP_3) | instskip(SKIP_1) | instid1(VALU_DEP_4)
	v_add_co_u32 v4, vcc_lo, v13, v7
	s_wait_alu 0xfffd
	v_add_co_ci_u32_e32 v7, vcc_lo, 0, v8, vcc_lo
	s_delay_alu instid0(VALU_DEP_2) | instskip(SKIP_1) | instid1(VALU_DEP_2)
	v_add_co_u32 v4, vcc_lo, v4, v9
	s_wait_alu 0xfffd
	v_add_co_ci_u32_e32 v4, vcc_lo, v7, v10, vcc_lo
	s_wait_alu 0xfffd
	v_add_co_ci_u32_e32 v7, vcc_lo, 0, v12, vcc_lo
	s_delay_alu instid0(VALU_DEP_2) | instskip(SKIP_1) | instid1(VALU_DEP_2)
	v_add_co_u32 v4, vcc_lo, v4, v11
	s_wait_alu 0xfffd
	v_add_co_ci_u32_e32 v9, vcc_lo, 0, v7, vcc_lo
	s_delay_alu instid0(VALU_DEP_2) | instskip(SKIP_1) | instid1(VALU_DEP_3)
	v_mul_lo_u32 v10, s19, v4
	v_mad_co_u64_u32 v[7:8], null, s18, v4, 0
	v_mul_lo_u32 v11, s18, v9
	s_delay_alu instid0(VALU_DEP_2) | instskip(NEXT) | instid1(VALU_DEP_2)
	v_sub_co_u32 v7, vcc_lo, v5, v7
	v_add3_u32 v8, v8, v11, v10
	s_delay_alu instid0(VALU_DEP_1) | instskip(SKIP_1) | instid1(VALU_DEP_1)
	v_sub_nc_u32_e32 v10, v6, v8
	s_wait_alu 0xfffd
	v_subrev_co_ci_u32_e64 v10, s2, s19, v10, vcc_lo
	v_add_co_u32 v11, s2, v4, 2
	s_wait_alu 0xf1ff
	v_add_co_ci_u32_e64 v12, s2, 0, v9, s2
	v_sub_co_u32 v13, s2, v7, s18
	v_sub_co_ci_u32_e32 v8, vcc_lo, v6, v8, vcc_lo
	s_wait_alu 0xf1ff
	v_subrev_co_ci_u32_e64 v10, s2, 0, v10, s2
	s_delay_alu instid0(VALU_DEP_3) | instskip(NEXT) | instid1(VALU_DEP_3)
	v_cmp_le_u32_e32 vcc_lo, s18, v13
	v_cmp_eq_u32_e64 s2, s19, v8
	s_wait_alu 0xfffd
	v_cndmask_b32_e64 v13, 0, -1, vcc_lo
	v_cmp_le_u32_e32 vcc_lo, s19, v10
	s_wait_alu 0xfffd
	v_cndmask_b32_e64 v14, 0, -1, vcc_lo
	v_cmp_le_u32_e32 vcc_lo, s18, v7
	;; [unrolled: 3-line block ×3, first 2 shown]
	s_wait_alu 0xfffd
	v_cndmask_b32_e64 v15, 0, -1, vcc_lo
	v_cmp_eq_u32_e32 vcc_lo, s19, v10
	s_wait_alu 0xf1ff
	s_delay_alu instid0(VALU_DEP_2)
	v_cndmask_b32_e64 v7, v15, v7, s2
	s_wait_alu 0xfffd
	v_cndmask_b32_e32 v10, v14, v13, vcc_lo
	v_add_co_u32 v13, vcc_lo, v4, 1
	s_wait_alu 0xfffd
	v_add_co_ci_u32_e32 v14, vcc_lo, 0, v9, vcc_lo
	s_delay_alu instid0(VALU_DEP_3) | instskip(SKIP_2) | instid1(VALU_DEP_3)
	v_cmp_ne_u32_e32 vcc_lo, 0, v10
	s_wait_alu 0xfffd
	v_cndmask_b32_e32 v10, v13, v11, vcc_lo
	v_cndmask_b32_e32 v8, v14, v12, vcc_lo
	v_cmp_ne_u32_e32 vcc_lo, 0, v7
	s_wait_alu 0xfffd
	s_delay_alu instid0(VALU_DEP_2)
	v_dual_cndmask_b32 v7, v4, v10 :: v_dual_cndmask_b32 v8, v9, v8
.LBB0_4:                                ;   in Loop: Header=BB0_2 Depth=1
	s_wait_alu 0xfffe
	s_and_not1_saveexec_b32 s2, s20
	s_cbranch_execz .LBB0_6
; %bb.5:                                ;   in Loop: Header=BB0_2 Depth=1
	v_cvt_f32_u32_e32 v4, s18
	s_sub_co_i32 s20, 0, s18
	s_delay_alu instid0(VALU_DEP_1) | instskip(NEXT) | instid1(TRANS32_DEP_1)
	v_rcp_iflag_f32_e32 v4, v4
	v_mul_f32_e32 v4, 0x4f7ffffe, v4
	s_delay_alu instid0(VALU_DEP_1) | instskip(SKIP_1) | instid1(VALU_DEP_1)
	v_cvt_u32_f32_e32 v4, v4
	s_wait_alu 0xfffe
	v_mul_lo_u32 v7, s20, v4
	s_delay_alu instid0(VALU_DEP_1) | instskip(NEXT) | instid1(VALU_DEP_1)
	v_mul_hi_u32 v7, v4, v7
	v_add_nc_u32_e32 v4, v4, v7
	s_delay_alu instid0(VALU_DEP_1) | instskip(NEXT) | instid1(VALU_DEP_1)
	v_mul_hi_u32 v4, v5, v4
	v_mul_lo_u32 v7, v4, s18
	v_add_nc_u32_e32 v8, 1, v4
	s_delay_alu instid0(VALU_DEP_2) | instskip(NEXT) | instid1(VALU_DEP_1)
	v_sub_nc_u32_e32 v7, v5, v7
	v_subrev_nc_u32_e32 v9, s18, v7
	v_cmp_le_u32_e32 vcc_lo, s18, v7
	s_wait_alu 0xfffd
	s_delay_alu instid0(VALU_DEP_2) | instskip(NEXT) | instid1(VALU_DEP_1)
	v_dual_cndmask_b32 v7, v7, v9 :: v_dual_cndmask_b32 v4, v4, v8
	v_cmp_le_u32_e32 vcc_lo, s18, v7
	s_delay_alu instid0(VALU_DEP_2) | instskip(SKIP_1) | instid1(VALU_DEP_1)
	v_add_nc_u32_e32 v8, 1, v4
	s_wait_alu 0xfffd
	v_dual_cndmask_b32 v7, v4, v8 :: v_dual_mov_b32 v8, v3
.LBB0_6:                                ;   in Loop: Header=BB0_2 Depth=1
	s_wait_alu 0xfffe
	s_or_b32 exec_lo, exec_lo, s2
	s_load_b64 s[20:21], s[12:13], 0x0
	s_delay_alu instid0(VALU_DEP_1)
	v_mul_lo_u32 v4, v8, s18
	v_mul_lo_u32 v11, v7, s19
	v_mad_co_u64_u32 v[9:10], null, v7, s18, 0
	s_add_nc_u64 s[14:15], s[14:15], 1
	s_add_nc_u64 s[12:13], s[12:13], 8
	s_wait_alu 0xfffe
	v_cmp_ge_u64_e64 s2, s[14:15], s[6:7]
	s_add_nc_u64 s[16:17], s[16:17], 8
	s_delay_alu instid0(VALU_DEP_2) | instskip(NEXT) | instid1(VALU_DEP_3)
	v_add3_u32 v4, v10, v11, v4
	v_sub_co_u32 v5, vcc_lo, v5, v9
	s_wait_alu 0xfffd
	s_delay_alu instid0(VALU_DEP_2) | instskip(SKIP_3) | instid1(VALU_DEP_2)
	v_sub_co_ci_u32_e32 v4, vcc_lo, v6, v4, vcc_lo
	s_and_b32 vcc_lo, exec_lo, s2
	s_wait_kmcnt 0x0
	v_mul_lo_u32 v6, s21, v5
	v_mul_lo_u32 v4, s20, v4
	v_mad_co_u64_u32 v[1:2], null, s20, v5, v[1:2]
	s_delay_alu instid0(VALU_DEP_1)
	v_add3_u32 v2, v6, v2, v4
	s_wait_alu 0xfffe
	s_cbranch_vccnz .LBB0_9
; %bb.7:                                ;   in Loop: Header=BB0_2 Depth=1
	v_dual_mov_b32 v5, v7 :: v_dual_mov_b32 v6, v8
	s_branch .LBB0_2
.LBB0_8:
	v_dual_mov_b32 v8, v6 :: v_dual_mov_b32 v7, v5
.LBB0_9:
	s_lshl_b64 s[2:3], s[6:7], 3
	v_mul_hi_u32 v3, 0x2828283, v0
	s_wait_alu 0xfffe
	s_add_nc_u64 s[2:3], s[10:11], s[2:3]
                                        ; implicit-def: $vgpr10_vgpr11
                                        ; implicit-def: $vgpr14_vgpr15
                                        ; implicit-def: $vgpr18_vgpr19
                                        ; implicit-def: $vgpr26_vgpr27
                                        ; implicit-def: $vgpr30_vgpr31
                                        ; implicit-def: $vgpr34_vgpr35
                                        ; implicit-def: $vgpr38_vgpr39
                                        ; implicit-def: $vgpr42_vgpr43
                                        ; implicit-def: $vgpr66_vgpr67
                                        ; implicit-def: $vgpr62_vgpr63
                                        ; implicit-def: $vgpr58_vgpr59
                                        ; implicit-def: $vgpr54_vgpr55
                                        ; implicit-def: $vgpr50_vgpr51
                                        ; implicit-def: $vgpr46_vgpr47
                                        ; implicit-def: $vgpr22_vgpr23
	s_load_b64 s[2:3], s[2:3], 0x0
	s_load_b64 s[0:1], s[0:1], 0x20
	s_delay_alu instid0(VALU_DEP_1) | instskip(NEXT) | instid1(VALU_DEP_1)
	v_mul_u32_u24_e32 v3, 0x66, v3
	v_sub_nc_u32_e32 v86, v0, v3
	s_wait_kmcnt 0x0
	v_mul_lo_u32 v4, s2, v8
	v_mul_lo_u32 v5, s3, v7
	v_mad_co_u64_u32 v[1:2], null, s2, v7, v[1:2]
	v_cmp_gt_u64_e32 vcc_lo, s[0:1], v[7:8]
	v_cmp_gt_u32_e64 s0, 54, v86
                                        ; implicit-def: $vgpr6_vgpr7
	s_delay_alu instid0(VALU_DEP_1) | instskip(NEXT) | instid1(VALU_DEP_3)
	s_and_b32 s1, vcc_lo, s0
	v_add3_u32 v2, v5, v2, v4
	s_delay_alu instid0(VALU_DEP_1)
	v_lshlrev_b64_e32 v[84:85], 4, v[1:2]
                                        ; implicit-def: $vgpr2_vgpr3
	s_wait_alu 0xfffe
	s_and_saveexec_b32 s2, s1
; %bb.10:
	v_mov_b32_e32 v87, 0
	s_delay_alu instid0(VALU_DEP_2) | instskip(SKIP_2) | instid1(VALU_DEP_3)
	v_add_co_u32 v2, s1, s8, v84
	s_wait_alu 0xf1ff
	v_add_co_ci_u32_e64 v3, s1, s9, v85, s1
	v_lshlrev_b64_e32 v[0:1], 4, v[86:87]
	s_delay_alu instid0(VALU_DEP_1) | instskip(SKIP_1) | instid1(VALU_DEP_2)
	v_add_co_u32 v0, s1, v2, v0
	s_wait_alu 0xf1ff
	v_add_co_ci_u32_e64 v1, s1, v3, v1, s1
	s_clause 0x10
	global_load_b128 v[20:23], v[0:1], off
	global_load_b128 v[44:47], v[0:1], off offset:864
	global_load_b128 v[48:51], v[0:1], off offset:1728
	;; [unrolled: 1-line block ×16, first 2 shown]
; %bb.11:
	s_wait_alu 0xfffe
	s_or_b32 exec_lo, exec_lo, s2
	s_wait_loadcnt 0x0
	v_add_f64_e32 v[102:103], v[0:1], v[44:45]
	s_mov_b32 s2, 0x7faef3
	s_mov_b32 s3, 0xbfef7484
	v_add_f64_e64 v[120:121], v[46:47], -v[2:3]
	v_add_f64_e32 v[100:101], v[4:5], v[48:49]
	s_mov_b32 s18, 0xacd6c6b4
	s_mov_b32 s6, 0x370991
	s_mov_b32 s19, 0xbfc7851a
	s_mov_b32 s7, 0x3fedd6d0
	v_add_f64_e64 v[118:119], v[50:51], -v[6:7]
	v_add_f64_e32 v[96:97], v[8:9], v[52:53]
	s_mov_b32 s22, 0x5d8e7cdc
	s_mov_b32 s10, 0x910ea3b9
	;; [unrolled: 6-line block ×5, first 2 shown]
	s_mov_b32 s31, 0xbfe9895b
	s_mov_b32 s17, 0x3fdc86fa
	v_add_f64_e64 v[98:99], v[66:67], -v[26:27]
	s_mov_b32 s34, 0x7c9e640b
	s_mov_b32 s20, 0xc61f0d01
	;; [unrolled: 1-line block ×4, first 2 shown]
	s_wait_alu 0xfffe
	v_mul_f64_e32 v[116:117], s[2:3], v[102:103]
	v_add_f64_e64 v[90:91], v[42:43], -v[30:31]
	s_mov_b32 s38, 0x923c349f
	s_mov_b32 s26, 0x3259b75e
	v_mul_f64_e32 v[112:113], s[6:7], v[100:101]
	s_mov_b32 s39, 0xbfeec746
	s_mov_b32 s27, 0x3fb79ee6
	v_add_f64_e64 v[78:79], v[38:39], -v[34:35]
	s_mov_b32 s36, 0xeb564b22
	s_mov_b32 s37, 0x3fefdd0d
	v_mul_f64_e32 v[110:111], s[10:11], v[96:97]
	v_mul_f64_e32 v[104:105], s[12:13], v[92:93]
	;; [unrolled: 1-line block ×4, first 2 shown]
	v_fma_f64 v[68:69], v[120:121], s[18:19], v[116:117]
	v_fma_f64 v[70:71], v[118:119], s[22:23], v[112:113]
	;; [unrolled: 1-line block ×5, first 2 shown]
	v_add_f64_e32 v[68:69], v[20:21], v[68:69]
	s_delay_alu instid0(VALU_DEP_1) | instskip(SKIP_1) | instid1(VALU_DEP_2)
	v_add_f64_e32 v[68:69], v[70:71], v[68:69]
	v_add_f64_e32 v[70:71], v[28:29], v[40:41]
	;; [unrolled: 1-line block ×3, first 2 shown]
	v_fma_f64 v[72:73], v[108:109], s[30:31], v[94:95]
	s_delay_alu instid0(VALU_DEP_2) | instskip(NEXT) | instid1(VALU_DEP_4)
	v_add_f64_e32 v[68:69], v[74:75], v[68:69]
	v_mul_f64_e32 v[74:75], s[20:21], v[70:71]
	s_delay_alu instid0(VALU_DEP_2) | instskip(SKIP_1) | instid1(VALU_DEP_3)
	v_add_f64_e32 v[72:73], v[72:73], v[68:69]
	v_add_f64_e32 v[68:69], v[32:33], v[36:37]
	v_fma_f64 v[122:123], v[90:91], s[38:39], v[74:75]
	s_delay_alu instid0(VALU_DEP_3) | instskip(SKIP_1) | instid1(VALU_DEP_3)
	v_add_f64_e32 v[87:88], v[87:88], v[72:73]
	s_wait_alu 0xfffe
	v_mul_f64_e32 v[72:73], s[26:27], v[68:69]
	s_delay_alu instid0(VALU_DEP_2) | instskip(NEXT) | instid1(VALU_DEP_2)
	v_add_f64_e32 v[87:88], v[122:123], v[87:88]
	v_fma_f64 v[122:123], v[78:79], s[36:37], v[72:73]
	s_delay_alu instid0(VALU_DEP_1)
	v_add_f64_e32 v[88:89], v[122:123], v[87:88]
	s_and_saveexec_b32 s1, s0
	s_cbranch_execz .LBB0_13
; %bb.12:
	v_add_f64_e32 v[122:123], v[44:45], v[20:21]
	v_mul_f64_e32 v[124:125], s[18:19], v[120:121]
	v_mul_f64_e32 v[126:127], s[24:25], v[120:121]
	;; [unrolled: 1-line block ×3, first 2 shown]
	s_mov_b32 s41, 0xbfefdd0d
	s_mov_b32 s40, s36
	v_mul_f64_e32 v[130:131], s[38:39], v[120:121]
	s_mov_b32 s51, 0xbfeca52d
	s_mov_b32 s50, s34
	;; [unrolled: 1-line block ×4, first 2 shown]
	v_mul_f64_e32 v[132:133], s[40:41], v[120:121]
	s_mov_b32 s43, 0xbfd71e95
	s_mov_b32 s42, s22
	v_mul_f64_e32 v[134:135], s[50:51], v[120:121]
	v_mul_f64_e32 v[136:137], s[46:47], v[120:121]
	;; [unrolled: 1-line block ×3, first 2 shown]
	s_mov_b32 s49, 0x3feec746
	s_mov_b32 s48, s38
	;; [unrolled: 1-line block ×4, first 2 shown]
	v_mul_f64_e32 v[138:139], s[22:23], v[118:119]
	v_mul_f64_e32 v[148:149], s[34:35], v[118:119]
	;; [unrolled: 1-line block ×8, first 2 shown]
	s_mov_b32 s55, 0x3fc7851a
	s_mov_b32 s54, s18
	v_mul_f64_e32 v[146:147], s[24:25], v[114:115]
	v_mul_f64_e32 v[156:157], s[28:29], v[114:115]
	;; [unrolled: 1-line block ×7, first 2 shown]
	v_add_f64_e32 v[122:123], v[48:49], v[122:123]
	v_add_f64_e64 v[116:117], v[116:117], -v[124:125]
	v_fma_f64 v[124:125], v[102:103], s[10:11], v[126:127]
	v_fma_f64 v[126:127], v[102:103], s[10:11], -v[126:127]
	v_fma_f64 v[164:165], v[102:103], s[14:15], v[128:129]
	v_fma_f64 v[128:129], v[102:103], s[14:15], -v[128:129]
	;; [unrolled: 2-line block ×3, first 2 shown]
	v_mul_f64_e32 v[114:115], s[50:51], v[114:115]
	s_mov_b32 s45, 0x3fe9895b
	s_mov_b32 s44, s30
	v_fma_f64 v[168:169], v[102:103], s[26:27], v[132:133]
	v_fma_f64 v[132:133], v[102:103], s[26:27], -v[132:133]
	v_mul_f64_e32 v[144:145], s[28:29], v[106:107]
	v_fma_f64 v[170:171], v[102:103], s[16:17], v[134:135]
	v_fma_f64 v[134:135], v[102:103], s[16:17], -v[134:135]
	v_fma_f64 v[172:173], v[102:103], s[12:13], v[136:137]
	v_fma_f64 v[174:175], v[102:103], s[6:7], -v[120:121]
	v_fma_f64 v[136:137], v[102:103], s[12:13], -v[136:137]
	v_fma_f64 v[102:103], v[102:103], s[6:7], v[120:121]
	v_mul_f64_e32 v[120:121], s[24:25], v[106:107]
	v_add_f64_e64 v[112:113], v[112:113], -v[138:139]
	v_fma_f64 v[138:139], v[100:101], s[16:17], v[148:149]
	v_fma_f64 v[148:149], v[100:101], s[16:17], -v[148:149]
	v_fma_f64 v[186:187], v[100:101], s[2:3], v[150:151]
	v_fma_f64 v[150:151], v[100:101], s[2:3], -v[150:151]
	;; [unrolled: 2-line block ×7, first 2 shown]
	v_mul_f64_e32 v[176:177], s[22:23], v[106:107]
	v_mul_f64_e32 v[198:199], s[50:51], v[106:107]
	v_add_f64_e32 v[122:123], v[52:53], v[122:123]
	v_add_f64_e32 v[116:117], v[20:21], v[116:117]
	;; [unrolled: 1-line block ×8, first 2 shown]
	v_add_f64_e64 v[110:111], v[110:111], -v[146:147]
	v_fma_f64 v[146:147], v[96:97], s[12:13], v[156:157]
	v_fma_f64 v[156:157], v[96:97], s[12:13], -v[156:157]
	v_add_f64_e32 v[166:167], v[20:21], v[168:169]
	v_add_f64_e32 v[132:133], v[20:21], v[132:133]
	v_fma_f64 v[200:201], v[96:97], s[14:15], v[160:161]
	v_add_f64_e32 v[168:169], v[20:21], v[170:171]
	v_add_f64_e32 v[134:135], v[20:21], v[134:135]
	;; [unrolled: 1-line block ×6, first 2 shown]
	v_mul_f64_e32 v[102:103], s[18:19], v[106:107]
	v_mul_f64_e32 v[174:175], s[44:45], v[106:107]
	v_fma_f64 v[160:161], v[96:97], s[14:15], -v[160:161]
	v_fma_f64 v[202:203], v[96:97], s[26:27], v[178:179]
	v_fma_f64 v[178:179], v[96:97], s[26:27], -v[178:179]
	v_fma_f64 v[204:205], v[96:97], s[6:7], v[180:181]
	;; [unrolled: 2-line block ×5, first 2 shown]
	v_fma_f64 v[96:97], v[96:97], s[16:17], -v[114:115]
	v_mul_f64_e32 v[114:115], s[48:49], v[106:107]
	v_mul_f64_e32 v[106:107], s[40:41], v[106:107]
	v_add_f64_e64 v[104:105], v[104:105], -v[144:145]
	v_fma_f64 v[144:145], v[92:93], s[10:11], v[120:121]
	v_fma_f64 v[120:121], v[92:93], s[10:11], -v[120:121]
	v_add_f64_e32 v[122:123], v[56:57], v[122:123]
	v_add_f64_e32 v[112:113], v[112:113], v[116:117]
	;; [unrolled: 1-line block ×8, first 2 shown]
	v_mul_f64_e32 v[116:117], s[30:31], v[108:109]
	v_fma_f64 v[190:191], v[92:93], s[16:17], v[198:199]
	v_fma_f64 v[192:193], v[92:93], s[16:17], -v[198:199]
	v_add_f64_e32 v[154:155], v[186:187], v[166:167]
	v_add_f64_e32 v[132:133], v[150:151], v[132:133]
	v_mul_f64_e32 v[138:139], s[36:37], v[108:109]
	v_add_f64_e32 v[150:151], v[188:189], v[168:169]
	v_add_f64_e32 v[134:135], v[152:153], v[134:135]
	;; [unrolled: 1-line block ×6, first 2 shown]
	v_fma_f64 v[172:173], v[92:93], s[6:7], v[176:177]
	v_fma_f64 v[176:177], v[92:93], s[6:7], -v[176:177]
	v_fma_f64 v[186:187], v[92:93], s[2:3], v[102:103]
	v_fma_f64 v[102:103], v[92:93], s[2:3], -v[102:103]
	;; [unrolled: 2-line block ×3, first 2 shown]
	v_mul_f64_e32 v[158:159], s[18:19], v[108:109]
	v_mul_f64_e32 v[162:163], s[28:29], v[108:109]
	;; [unrolled: 1-line block ×7, first 2 shown]
	v_fma_f64 v[194:195], v[92:93], s[20:21], v[114:115]
	v_fma_f64 v[114:115], v[92:93], s[20:21], -v[114:115]
	v_fma_f64 v[196:197], v[92:93], s[26:27], v[106:107]
	v_fma_f64 v[92:93], v[92:93], s[26:27], -v[106:107]
	v_mul_f64_e32 v[166:167], s[18:19], v[98:99]
	v_add_f64_e32 v[122:123], v[60:61], v[122:123]
	v_add_f64_e32 v[106:107], v[110:111], v[112:113]
	;; [unrolled: 1-line block ×8, first 2 shown]
	v_add_f64_e64 v[94:95], v[94:95], -v[116:117]
	v_mul_f64_e32 v[156:157], s[46:47], v[98:99]
	v_mul_f64_e32 v[140:141], s[38:39], v[90:91]
	v_add_f64_e32 v[130:131], v[206:207], v[154:155]
	v_add_f64_e32 v[132:133], v[182:183], v[132:133]
	v_fma_f64 v[116:117], v[80:81], s[26:27], v[138:139]
	v_add_f64_e32 v[146:147], v[208:209], v[150:151]
	v_add_f64_e32 v[134:135], v[184:185], v[134:135]
	;; [unrolled: 1-line block ×6, first 2 shown]
	v_mul_f64_e32 v[136:137], s[36:37], v[98:99]
	v_mul_f64_e32 v[150:151], s[24:25], v[98:99]
	;; [unrolled: 1-line block ×5, first 2 shown]
	v_fma_f64 v[138:139], v[80:81], s[26:27], -v[138:139]
	v_fma_f64 v[178:179], v[80:81], s[2:3], v[158:159]
	v_fma_f64 v[158:159], v[80:81], s[2:3], -v[158:159]
	v_fma_f64 v[180:181], v[80:81], s[12:13], v[162:163]
	;; [unrolled: 2-line block ×6, first 2 shown]
	v_fma_f64 v[80:81], v[80:81], s[10:11], -v[108:109]
	v_add_f64_e32 v[122:123], v[64:65], v[122:123]
	v_add_f64_e32 v[104:105], v[104:105], v[106:107]
	;; [unrolled: 1-line block ×8, first 2 shown]
	v_add_f64_e64 v[82:83], v[82:83], -v[142:143]
	v_mul_f64_e32 v[154:155], s[28:29], v[90:91]
	v_mul_f64_e32 v[144:145], s[42:43], v[90:91]
	v_add_f64_e32 v[124:125], v[172:173], v[130:131]
	v_add_f64_e32 v[126:127], v[176:177], v[132:133]
	v_mul_f64_e32 v[132:133], s[24:25], v[90:91]
	v_add_f64_e32 v[128:129], v[194:195], v[146:147]
	v_add_f64_e32 v[114:115], v[114:115], v[134:135]
	;; [unrolled: 1-line block ×6, first 2 shown]
	v_mul_f64_e32 v[102:103], s[18:19], v[90:91]
	v_mul_f64_e32 v[146:147], s[44:45], v[90:91]
	v_fma_f64 v[142:143], v[76:77], s[2:3], v[166:167]
	v_fma_f64 v[148:149], v[76:77], s[2:3], -v[166:167]
	v_fma_f64 v[166:167], v[76:77], s[26:27], v[136:137]
	v_fma_f64 v[136:137], v[76:77], s[26:27], -v[136:137]
	;; [unrolled: 2-line block ×7, first 2 shown]
	v_mul_f64_e32 v[134:135], s[36:37], v[78:79]
	v_add_f64_e64 v[74:75], v[74:75], -v[140:141]
	v_add_f64_e32 v[122:123], v[40:41], v[122:123]
	v_add_f64_e32 v[94:95], v[94:95], v[104:105]
	;; [unrolled: 1-line block ×8, first 2 shown]
	v_mul_f64_e32 v[138:139], s[24:25], v[78:79]
	v_mul_f64_e32 v[158:159], s[22:23], v[78:79]
	v_fma_f64 v[140:141], v[70:71], s[12:13], v[154:155]
	v_add_f64_e32 v[116:117], v[198:199], v[124:125]
	v_add_f64_e32 v[118:119], v[170:171], v[126:127]
	v_mul_f64_e32 v[126:127], s[34:35], v[78:79]
	v_add_f64_e32 v[120:121], v[180:181], v[128:129]
	v_add_f64_e32 v[114:115], v[162:163], v[114:115]
	;; [unrolled: 1-line block ×6, first 2 shown]
	v_mul_f64_e32 v[128:129], s[30:31], v[78:79]
	v_mul_f64_e32 v[130:131], s[28:29], v[78:79]
	v_fma_f64 v[154:155], v[70:71], s[12:13], -v[154:155]
	v_fma_f64 v[162:163], v[70:71], s[2:3], v[102:103]
	v_fma_f64 v[102:103], v[70:71], s[2:3], -v[102:103]
	v_fma_f64 v[168:169], v[70:71], s[10:11], v[132:133]
	;; [unrolled: 2-line block ×4, first 2 shown]
	v_fma_f64 v[146:147], v[70:71], s[14:15], -v[146:147]
	v_mad_u32_u24 v87, 0x88, v86, 0
	v_add_f64_e64 v[72:73], v[72:73], -v[134:135]
	v_add_f64_e32 v[122:123], v[36:37], v[122:123]
	v_add_f64_e32 v[82:83], v[82:83], v[94:95]
	;; [unrolled: 1-line block ×5, first 2 shown]
	v_fma_f64 v[136:137], v[68:69], s[10:11], v[138:139]
	v_fma_f64 v[138:139], v[68:69], s[10:11], -v[138:139]
	v_fma_f64 v[148:149], v[68:69], s[6:7], -v[158:159]
	v_add_f64_e32 v[112:113], v[150:151], v[118:119]
	v_add_f64_e32 v[114:115], v[160:161], v[114:115]
	v_add_f64_e32 v[118:119], v[188:189], v[124:125]
	v_add_f64_e32 v[92:93], v[152:153], v[92:93]
	v_add_f64_e32 v[76:77], v[76:77], v[80:81]
	v_add_f64_e32 v[20:21], v[174:175], v[20:21]
	v_fma_f64 v[124:125], v[68:69], s[16:17], -v[126:127]
	v_fma_f64 v[134:135], v[68:69], s[12:13], v[130:131]
	v_fma_f64 v[130:131], v[68:69], s[12:13], -v[130:131]
	v_add_f64_e32 v[122:123], v[32:33], v[122:123]
	v_add_f64_e32 v[74:75], v[74:75], v[82:83]
	;; [unrolled: 1-line block ×9, first 2 shown]
	s_delay_alu instid0(VALU_DEP_2) | instskip(NEXT) | instid1(VALU_DEP_1)
	v_add_f64_e32 v[122:123], v[24:25], v[122:123]
	v_add_f64_e32 v[100:101], v[16:17], v[122:123]
	v_mul_f64_e32 v[122:123], s[34:35], v[90:91]
	v_mul_f64_e32 v[90:91], s[40:41], v[90:91]
	s_delay_alu instid0(VALU_DEP_3)
	v_add_f64_e32 v[96:97], v[12:13], v[100:101]
	v_mul_f64_e32 v[100:101], s[38:39], v[78:79]
	v_mul_f64_e32 v[78:79], s[18:19], v[78:79]
	v_fma_f64 v[164:165], v[70:71], s[16:17], v[122:123]
	v_fma_f64 v[122:123], v[70:71], s[16:17], -v[122:123]
	v_fma_f64 v[180:181], v[70:71], s[26:27], v[90:91]
	v_fma_f64 v[70:71], v[70:71], s[26:27], -v[90:91]
	v_add_f64_e32 v[90:91], v[142:143], v[98:99]
	v_add_f64_e32 v[98:99], v[176:177], v[106:107]
	;; [unrolled: 1-line block ×5, first 2 shown]
	v_fma_f64 v[120:121], v[68:69], s[16:17], v[126:127]
	v_fma_f64 v[126:127], v[68:69], s[14:15], v[128:129]
	v_fma_f64 v[128:129], v[68:69], s[14:15], -v[128:129]
	v_fma_f64 v[142:143], v[68:69], s[6:7], v[158:159]
	v_add_f64_e32 v[80:81], v[8:9], v[96:97]
	v_fma_f64 v[96:97], v[68:69], s[20:21], v[100:101]
	v_fma_f64 v[100:101], v[68:69], s[20:21], -v[100:101]
	v_fma_f64 v[150:151], v[68:69], s[2:3], v[78:79]
	v_fma_f64 v[68:69], v[68:69], s[2:3], -v[78:79]
	v_add_f64_e32 v[76:77], v[122:123], v[76:77]
	v_add_f64_e32 v[70:71], v[70:71], v[114:115]
	;; [unrolled: 1-line block ×25, first 2 shown]
	ds_store_2addr_b64 v87, v[72:73], v[88:89] offset0:8 offset1:9
	ds_store_2addr_b64 v87, v[74:75], v[82:83] offset0:10 offset1:11
	;; [unrolled: 1-line block ×7, first 2 shown]
	ds_store_2addr_b64 v87, v[80:81], v[68:69] offset1:1
	ds_store_b64 v87, v[20:21] offset:128
.LBB0_13:
	s_wait_alu 0xfffe
	s_or_b32 exec_lo, exec_lo, s1
	v_add_f64_e64 v[114:115], v[44:45], -v[0:1]
	v_add_f64_e32 v[104:105], v[2:3], v[46:47]
	v_add_f64_e64 v[112:113], v[48:49], -v[4:5]
	v_add_f64_e32 v[102:103], v[6:7], v[50:51]
	;; [unrolled: 2-line block ×7, first 2 shown]
	v_add_f64_e64 v[20:21], v[36:37], -v[32:33]
	v_lshl_add_u32 v116, v86, 3, 0
	global_wb scope:SCOPE_SE
	s_wait_dscnt 0x0
	s_barrier_signal -1
	s_barrier_wait -1
	global_inv scope:SCOPE_SE
	v_add_nc_u32_e32 v87, 0x400, v116
	v_add_nc_u32_e32 v36, 0x800, v116
	v_add_nc_u32_e32 v117, 0x1000, v116
	v_mul_f64_e32 v[110:111], s[18:19], v[114:115]
	v_mul_f64_e32 v[106:107], s[22:23], v[112:113]
	;; [unrolled: 1-line block ×7, first 2 shown]
	v_fma_f64 v[0:1], v[104:105], s[2:3], -v[110:111]
	v_fma_f64 v[4:5], v[102:103], s[6:7], -v[106:107]
	;; [unrolled: 1-line block ×3, first 2 shown]
	s_delay_alu instid0(VALU_DEP_4) | instskip(NEXT) | instid1(VALU_DEP_4)
	v_fma_f64 v[24:25], v[12:13], s[20:21], -v[16:17]
	v_add_f64_e32 v[0:1], v[22:23], v[0:1]
	s_delay_alu instid0(VALU_DEP_1) | instskip(SKIP_1) | instid1(VALU_DEP_2)
	v_add_f64_e32 v[0:1], v[4:5], v[0:1]
	v_fma_f64 v[4:5], v[90:91], s[12:13], -v[92:93]
	v_add_f64_e32 v[0:1], v[8:9], v[0:1]
	v_fma_f64 v[8:9], v[52:53], s[14:15], -v[60:61]
	s_delay_alu instid0(VALU_DEP_2) | instskip(SKIP_1) | instid1(VALU_DEP_2)
	v_add_f64_e32 v[0:1], v[4:5], v[0:1]
	v_fma_f64 v[4:5], v[44:45], s[16:17], -v[40:41]
	v_add_f64_e32 v[8:9], v[8:9], v[0:1]
	v_add_f64_e32 v[0:1], v[34:35], v[38:39]
	s_delay_alu instid0(VALU_DEP_2) | instskip(SKIP_1) | instid1(VALU_DEP_2)
	v_add_f64_e32 v[4:5], v[4:5], v[8:9]
	v_mul_f64_e32 v[8:9], s[36:37], v[20:21]
	v_add_f64_e32 v[4:5], v[24:25], v[4:5]
	s_delay_alu instid0(VALU_DEP_2) | instskip(NEXT) | instid1(VALU_DEP_1)
	v_fma_f64 v[24:25], v[0:1], s[26:27], -v[8:9]
	v_add_f64_e32 v[56:57], v[24:25], v[4:5]
	ds_load_2addr_b64 v[68:71], v116 offset1:102
	ds_load_2addr_b64 v[72:75], v87 offset0:76 offset1:178
	ds_load_2addr_b64 v[80:83], v36 offset0:152 offset1:254
	;; [unrolled: 1-line block ×3, first 2 shown]
	ds_load_b64 v[4:5], v116 offset:6528
	global_wb scope:SCOPE_SE
	s_wait_dscnt 0x0
	s_barrier_signal -1
	s_barrier_wait -1
	global_inv scope:SCOPE_SE
	s_and_saveexec_b32 s33, s0
	s_cbranch_execz .LBB0_15
; %bb.14:
	v_add_f64_e32 v[24:25], v[46:47], v[22:23]
	s_mov_b32 s24, 0x5d8e7cdc
	s_mov_b32 s36, 0x2a9d6da3
	;; [unrolled: 1-line block ×10, first 2 shown]
	s_wait_alu 0xfffe
	v_mul_f64_e32 v[120:121], s[36:37], v[114:115]
	v_mul_f64_e32 v[122:123], s[28:29], v[114:115]
	;; [unrolled: 1-line block ×4, first 2 shown]
	s_mov_b32 s42, 0x7c9e640b
	s_mov_b32 s43, 0xbfeca52d
	v_mul_f64_e32 v[118:119], s[14:15], v[52:53]
	s_mov_b32 s0, 0x370991
	s_mov_b32 s14, 0x3259b75e
	;; [unrolled: 1-line block ×3, first 2 shown]
	v_mul_f64_e32 v[32:33], s[16:17], v[44:45]
	s_mov_b32 s1, 0x3fedd6d0
	s_mov_b32 s15, 0x3fb79ee6
	;; [unrolled: 1-line block ×8, first 2 shown]
	s_wait_alu 0xfffe
	s_mov_b32 s30, s42
	s_mov_b32 s17, 0xbfeb34fa
	v_mul_f64_e32 v[130:131], s[28:29], v[112:113]
	v_mul_f64_e32 v[132:133], s[22:23], v[112:113]
	;; [unrolled: 1-line block ×5, first 2 shown]
	s_mov_b32 s20, 0x7faef3
	v_add_f64_e32 v[24:25], v[50:51], v[24:25]
	v_mul_f64_e32 v[50:51], s[2:3], v[104:105]
	s_mov_b32 s2, 0x75d4884
	s_mov_b32 s3, 0x3fe7a5f6
	;; [unrolled: 1-line block ×7, first 2 shown]
	v_mul_f64_e32 v[136:137], s[42:43], v[108:109]
	v_mul_f64_e32 v[138:139], s[22:23], v[108:109]
	s_wait_alu 0xfffe
	v_fma_f64 v[146:147], v[104:105], s[2:3], v[120:121]
	v_fma_f64 v[120:121], v[104:105], s[2:3], -v[120:121]
	v_fma_f64 v[148:149], v[104:105], s[14:15], v[122:123]
	v_fma_f64 v[122:123], v[104:105], s[14:15], -v[122:123]
	v_mul_f64_e32 v[144:145], s[24:25], v[108:109]
	v_mul_f64_e32 v[160:161], s[52:53], v[108:109]
	v_mul_f64_e32 v[162:163], s[44:45], v[108:109]
	s_mov_b32 s41, 0x3fd71e95
	s_mov_b32 s47, 0x3fe9895b
	;; [unrolled: 1-line block ×4, first 2 shown]
	v_mul_f64_e32 v[158:159], s[34:35], v[100:101]
	v_mul_f64_e32 v[176:177], s[44:45], v[100:101]
	s_wait_alu 0xfffe
	v_mul_f64_e32 v[178:179], s[40:41], v[100:101]
	s_mov_b32 s51, 0x3fefdd0d
	s_mov_b32 s50, s28
	v_add_f64_e32 v[60:61], v[118:119], v[60:61]
	v_add_f64_e32 v[32:33], v[32:33], v[40:41]
	v_fma_f64 v[164:165], v[102:103], s[14:15], v[130:131]
	v_fma_f64 v[130:131], v[102:103], s[14:15], -v[130:131]
	v_fma_f64 v[168:169], v[102:103], s[20:21], v[134:135]
	v_fma_f64 v[134:135], v[102:103], s[20:21], -v[134:135]
	v_add_f64_e32 v[16:17], v[28:29], v[16:17]
	v_add_f64_e32 v[24:25], v[54:55], v[24:25]
	v_mul_f64_e32 v[54:55], s[6:7], v[102:103]
	v_add_f64_e32 v[50:51], v[50:51], v[110:111]
	s_mov_b32 s6, 0x2b2883cd
	s_mov_b32 s7, 0x3fdc86fa
	v_add_f64_e32 v[120:121], v[22:23], v[120:121]
	v_add_f64_e32 v[122:123], v[22:23], v[122:123]
	v_fma_f64 v[182:183], v[96:97], s[0:1], v[144:145]
	v_fma_f64 v[144:145], v[96:97], s[0:1], -v[144:145]
	v_fma_f64 v[186:187], v[96:97], s[20:21], v[160:161]
	v_fma_f64 v[160:161], v[96:97], s[20:21], -v[160:161]
	v_add_f64_e32 v[24:25], v[58:59], v[24:25]
	v_mul_f64_e32 v[58:59], s[10:11], v[96:97]
	s_mov_b32 s10, 0xc61f0d01
	s_mov_b32 s11, 0xbfd183b1
	v_add_f64_e32 v[54:55], v[54:55], v[106:107]
	s_wait_alu 0xfffe
	v_fma_f64 v[150:151], v[104:105], s[10:11], v[124:125]
	v_fma_f64 v[124:125], v[104:105], s[10:11], -v[124:125]
	v_fma_f64 v[172:173], v[102:103], s[10:11], v[142:143]
	v_fma_f64 v[142:143], v[102:103], s[10:11], -v[142:143]
	v_add_f64_e32 v[50:51], v[22:23], v[50:51]
	v_fma_f64 v[188:189], v[96:97], s[10:11], v[162:163]
	v_fma_f64 v[162:163], v[96:97], s[10:11], -v[162:163]
	v_add_f64_e32 v[46:47], v[62:63], v[24:25]
	v_mul_f64_e32 v[24:25], s[26:27], v[0:1]
	s_mov_b32 s26, 0x4363dd80
	s_mov_b32 s27, 0xbfe0d888
	v_mul_f64_e32 v[62:63], s[12:13], v[90:91]
	s_wait_alu 0xfffe
	v_mul_f64_e32 v[128:129], s[26:27], v[114:115]
	s_mov_b32 s12, 0x6ed5f1bb
	s_mov_b32 s48, s26
	;; [unrolled: 1-line block ×3, first 2 shown]
	s_wait_alu 0xfffe
	v_mul_f64_e32 v[140:141], s[48:49], v[112:113]
	v_fma_f64 v[152:153], v[104:105], s[12:13], v[126:127]
	v_fma_f64 v[126:127], v[104:105], s[12:13], -v[126:127]
	v_fma_f64 v[166:167], v[102:103], s[12:13], v[132:133]
	v_fma_f64 v[132:133], v[102:103], s[12:13], -v[132:133]
	v_add_f64_e32 v[124:125], v[22:23], v[124:125]
	v_add_f64_e32 v[58:59], v[58:59], v[98:99]
	v_fma_f64 v[98:99], v[96:97], s[6:7], v[136:137]
	v_fma_f64 v[136:137], v[96:97], s[6:7], -v[136:137]
	v_fma_f64 v[180:181], v[96:97], s[12:13], v[138:139]
	v_fma_f64 v[138:139], v[96:97], s[12:13], -v[138:139]
	v_add_f64_e32 v[50:51], v[54:55], v[50:51]
	v_add_f64_e32 v[46:47], v[66:67], v[46:47]
	v_mul_f64_e32 v[66:67], s[24:25], v[114:115]
	v_mul_f64_e32 v[114:115], s[42:43], v[114:115]
	v_add_f64_e32 v[8:9], v[24:25], v[8:9]
	v_add_f64_e32 v[62:63], v[62:63], v[92:93]
	v_fma_f64 v[154:155], v[104:105], s[16:17], v[128:129]
	v_fma_f64 v[128:129], v[104:105], s[16:17], -v[128:129]
	v_fma_f64 v[170:171], v[102:103], s[16:17], v[140:141]
	v_fma_f64 v[140:141], v[102:103], s[16:17], -v[140:141]
	v_add_f64_e32 v[126:127], v[22:23], v[126:127]
	v_add_f64_e32 v[50:51], v[58:59], v[50:51]
	;; [unrolled: 1-line block ×3, first 2 shown]
	v_mul_f64_e32 v[46:47], s[36:37], v[112:113]
	v_mul_f64_e32 v[112:113], s[30:31], v[112:113]
	v_fma_f64 v[110:111], v[104:105], s[0:1], v[66:67]
	v_fma_f64 v[156:157], v[104:105], s[6:7], -v[114:115]
	v_fma_f64 v[66:67], v[104:105], s[0:1], -v[66:67]
	v_add_f64_e32 v[128:129], v[22:23], v[128:129]
	v_add_f64_e32 v[124:125], v[140:141], v[124:125]
	;; [unrolled: 1-line block ×3, first 2 shown]
	v_fma_f64 v[142:143], v[90:91], s[20:21], v[158:159]
	v_mul_f64_e32 v[140:141], s[38:39], v[94:95]
	v_add_f64_e32 v[50:51], v[62:63], v[50:51]
	v_add_f64_e32 v[37:38], v[38:39], v[42:43]
	v_fma_f64 v[42:43], v[104:105], s[6:7], v[114:115]
	v_mul_f64_e32 v[104:105], s[28:29], v[108:109]
	v_mul_f64_e32 v[108:109], s[38:39], v[108:109]
	v_fma_f64 v[106:107], v[102:103], s[2:3], v[46:47]
	v_fma_f64 v[46:47], v[102:103], s[2:3], -v[46:47]
	v_fma_f64 v[174:175], v[102:103], s[6:7], v[112:113]
	v_fma_f64 v[102:103], v[102:103], s[6:7], -v[112:113]
	v_add_f64_e32 v[110:111], v[22:23], v[110:111]
	v_add_f64_e32 v[112:113], v[22:23], v[146:147]
	;; [unrolled: 1-line block ×7, first 2 shown]
	v_mul_f64_e32 v[114:115], s[28:29], v[100:101]
	v_mul_f64_e32 v[156:157], s[18:19], v[94:95]
	v_add_f64_e32 v[50:51], v[60:61], v[50:51]
	v_add_f64_e32 v[34:35], v[34:35], v[37:38]
	;; [unrolled: 1-line block ×4, first 2 shown]
	v_mul_f64_e32 v[42:43], s[42:43], v[100:101]
	v_mul_f64_e32 v[66:67], s[26:27], v[100:101]
	;; [unrolled: 1-line block ×3, first 2 shown]
	v_fma_f64 v[184:185], v[96:97], s[14:15], v[104:105]
	v_fma_f64 v[104:105], v[96:97], s[14:15], -v[104:105]
	v_fma_f64 v[190:191], v[96:97], s[2:3], v[108:109]
	v_fma_f64 v[96:97], v[96:97], s[2:3], -v[108:109]
	v_add_f64_e32 v[54:55], v[106:107], v[110:111]
	v_add_f64_e32 v[106:107], v[164:165], v[112:113]
	;; [unrolled: 1-line block ×10, first 2 shown]
	v_mul_f64_e32 v[134:135], s[48:49], v[94:95]
	v_fma_f64 v[92:93], v[90:91], s[14:15], v[114:115]
	v_fma_f64 v[114:115], v[90:91], s[14:15], -v[114:115]
	v_fma_f64 v[146:147], v[90:91], s[20:21], -v[158:159]
	v_fma_f64 v[152:153], v[90:91], s[10:11], v[176:177]
	v_fma_f64 v[154:155], v[90:91], s[10:11], -v[176:177]
	v_fma_f64 v[158:159], v[90:91], s[0:1], v[178:179]
	v_fma_f64 v[164:165], v[90:91], s[0:1], -v[178:179]
	v_mul_f64_e32 v[132:133], s[24:25], v[94:95]
	v_fma_f64 v[118:119], v[52:53], s[10:11], v[156:157]
	v_add_f64_e32 v[32:33], v[32:33], v[50:51]
	v_add_f64_e32 v[30:31], v[30:31], v[34:35]
	;; [unrolled: 1-line block ×4, first 2 shown]
	v_mul_f64_e32 v[37:38], s[42:43], v[94:95]
	v_mul_f64_e32 v[46:47], s[34:35], v[94:95]
	v_fma_f64 v[148:149], v[90:91], s[6:7], v[42:43]
	v_fma_f64 v[42:43], v[90:91], s[6:7], -v[42:43]
	v_fma_f64 v[150:151], v[90:91], s[16:17], v[66:67]
	v_fma_f64 v[66:67], v[90:91], s[16:17], -v[66:67]
	v_fma_f64 v[166:167], v[90:91], s[12:13], v[100:101]
	v_fma_f64 v[90:91], v[90:91], s[12:13], -v[100:101]
	v_add_f64_e32 v[54:55], v[98:99], v[54:55]
	v_add_f64_e32 v[58:59], v[180:181], v[106:107]
	;; [unrolled: 1-line block ×5, first 2 shown]
	v_mul_f64_e32 v[94:95], s[50:51], v[94:95]
	v_add_f64_e32 v[106:107], v[162:163], v[112:113]
	v_add_f64_e32 v[110:111], v[182:183], v[122:123]
	;; [unrolled: 1-line block ×7, first 2 shown]
	v_mul_f64_e32 v[122:123], s[24:25], v[64:65]
	v_mul_f64_e32 v[124:125], s[26:27], v[64:65]
	;; [unrolled: 1-line block ×5, first 2 shown]
	v_fma_f64 v[160:161], v[52:53], s[16:17], v[134:135]
	v_fma_f64 v[134:135], v[52:53], s[16:17], -v[134:135]
	v_fma_f64 v[162:163], v[52:53], s[2:3], v[140:141]
	v_fma_f64 v[140:141], v[52:53], s[2:3], -v[140:141]
	v_add_f64_e32 v[16:17], v[16:17], v[32:33]
	v_add_f64_e32 v[26:27], v[26:27], v[30:31]
	;; [unrolled: 1-line block ×4, first 2 shown]
	v_mul_f64_e32 v[34:35], s[22:23], v[64:65]
	v_mul_f64_e32 v[64:65], s[50:51], v[64:65]
	v_fma_f64 v[138:139], v[52:53], s[6:7], v[37:38]
	v_fma_f64 v[144:145], v[52:53], s[20:21], v[46:47]
	v_fma_f64 v[136:137], v[52:53], s[10:11], -v[156:157]
	v_fma_f64 v[37:38], v[52:53], s[6:7], -v[37:38]
	;; [unrolled: 1-line block ×3, first 2 shown]
	v_fma_f64 v[156:157], v[52:53], s[0:1], v[132:133]
	v_add_f64_e32 v[54:55], v[92:93], v[54:55]
	v_add_f64_e32 v[58:59], v[142:143], v[58:59]
	;; [unrolled: 1-line block ×5, first 2 shown]
	v_fma_f64 v[132:133], v[52:53], s[0:1], -v[132:133]
	v_fma_f64 v[168:169], v[52:53], s[14:15], v[94:95]
	v_fma_f64 v[52:53], v[52:53], s[14:15], -v[94:95]
	v_add_f64_e32 v[94:95], v[164:165], v[106:107]
	v_add_f64_e32 v[100:101], v[150:151], v[110:111]
	;; [unrolled: 1-line block ×7, first 2 shown]
	v_mul_f64_e32 v[102:103], s[28:29], v[48:49]
	v_mul_f64_e32 v[104:105], s[24:25], v[48:49]
	;; [unrolled: 1-line block ×5, first 2 shown]
	v_fma_f64 v[120:121], v[44:45], s[0:1], -v[122:123]
	v_fma_f64 v[142:143], v[44:45], s[2:3], v[126:127]
	v_fma_f64 v[126:127], v[44:45], s[2:3], -v[126:127]
	v_fma_f64 v[146:147], v[44:45], s[20:21], v[128:129]
	;; [unrolled: 2-line block ×3, first 2 shown]
	v_fma_f64 v[130:131], v[44:45], s[10:11], -v[130:131]
	v_add_f64_e32 v[18:19], v[18:19], v[26:27]
	v_add_f64_e32 v[26:27], v[152:153], v[30:31]
	v_add_f64_e32 v[22:23], v[114:115], v[22:23]
	v_mul_f64_e32 v[30:31], s[26:27], v[48:49]
	v_mul_f64_e32 v[48:49], s[38:39], v[48:49]
	v_fma_f64 v[39:40], v[44:45], s[12:13], v[34:35]
	v_fma_f64 v[34:35], v[44:45], s[12:13], -v[34:35]
	v_fma_f64 v[114:115], v[44:45], s[0:1], v[122:123]
	v_fma_f64 v[122:123], v[44:45], s[16:17], v[124:125]
	v_fma_f64 v[124:125], v[44:45], s[16:17], -v[124:125]
	v_fma_f64 v[150:151], v[44:45], s[14:15], v[64:65]
	v_fma_f64 v[44:45], v[44:45], s[14:15], -v[64:65]
	v_add_f64_e32 v[54:55], v[118:119], v[54:55]
	v_add_f64_e32 v[58:59], v[160:161], v[58:59]
	;; [unrolled: 1-line block ×5, first 2 shown]
	v_mul_f64_e32 v[98:99], s[18:19], v[20:21]
	v_add_f64_e32 v[8:9], v[8:9], v[16:17]
	v_add_f64_e32 v[37:38], v[37:38], v[94:95]
	;; [unrolled: 1-line block ×8, first 2 shown]
	v_mul_f64_e32 v[90:91], s[26:27], v[20:21]
	v_mul_f64_e32 v[96:97], s[22:23], v[20:21]
	;; [unrolled: 1-line block ×4, first 2 shown]
	v_fma_f64 v[118:119], v[12:13], s[14:15], v[102:103]
	v_fma_f64 v[102:103], v[12:13], s[14:15], -v[102:103]
	v_fma_f64 v[132:133], v[12:13], s[0:1], v[104:105]
	v_fma_f64 v[104:105], v[12:13], s[0:1], -v[104:105]
	;; [unrolled: 2-line block ×4, first 2 shown]
	v_add_f64_e32 v[14:15], v[14:15], v[18:19]
	v_add_f64_e32 v[18:19], v[162:163], v[26:27]
	;; [unrolled: 1-line block ×3, first 2 shown]
	v_mul_f64_e32 v[26:27], s[34:35], v[20:21]
	v_mul_f64_e32 v[20:21], s[30:31], v[20:21]
	v_fma_f64 v[28:29], v[12:13], s[16:17], v[30:31]
	v_fma_f64 v[30:31], v[12:13], s[16:17], -v[30:31]
	v_fma_f64 v[136:137], v[12:13], s[6:7], v[110:111]
	v_fma_f64 v[110:111], v[12:13], s[6:7], -v[110:111]
	;; [unrolled: 2-line block ×3, first 2 shown]
	v_add_f64_e32 v[39:40], v[39:40], v[54:55]
	v_add_f64_e32 v[48:49], v[148:149], v[58:59]
	;; [unrolled: 1-line block ×12, first 2 shown]
	v_fma_f64 v[92:93], v[0:1], s[10:11], -v[98:99]
	v_fma_f64 v[45:46], v[0:1], s[12:13], v[96:97]
	v_fma_f64 v[66:67], v[0:1], s[12:13], -v[96:97]
	v_fma_f64 v[94:95], v[0:1], s[0:1], v[100:101]
	v_fma_f64 v[96:97], v[0:1], s[0:1], -v[100:101]
	v_fma_f64 v[100:101], v[0:1], s[2:3], -v[106:107]
	v_add_f64_e32 v[10:11], v[10:11], v[14:15]
	v_add_f64_e32 v[14:15], v[114:115], v[18:19]
	;; [unrolled: 1-line block ×3, first 2 shown]
	v_fma_f64 v[22:23], v[0:1], s[20:21], v[26:27]
	v_fma_f64 v[24:25], v[0:1], s[20:21], -v[26:27]
	v_fma_f64 v[26:27], v[0:1], s[16:17], v[90:91]
	v_fma_f64 v[34:35], v[0:1], s[16:17], -v[90:91]
	v_fma_f64 v[90:91], v[0:1], s[10:11], v[98:99]
	v_fma_f64 v[98:99], v[0:1], s[2:3], v[106:107]
	;; [unrolled: 1-line block ×3, first 2 shown]
	v_fma_f64 v[0:1], v[0:1], s[6:7], -v[20:21]
	v_add_f64_e32 v[20:21], v[28:29], v[39:40]
	v_add_f64_e32 v[28:29], v[136:137], v[48:49]
	;; [unrolled: 1-line block ×30, first 2 shown]
	v_lshl_add_u32 v14, v86, 7, v116
	ds_store_2addr_b64 v14, v[22:23], v[30:31] offset0:4 offset1:5
	ds_store_2addr_b64 v14, v[32:33], v[37:38] offset0:6 offset1:7
	;; [unrolled: 1-line block ×6, first 2 shown]
	ds_store_2addr_b64 v14, v[2:3], v[16:17] offset1:1
	ds_store_2addr_b64 v14, v[18:19], v[6:7] offset0:2 offset1:3
	ds_store_b64 v14, v[10:11] offset:128
.LBB0_15:
	s_or_b32 exec_lo, exec_lo, s33
	v_and_b32_e32 v0, 0xff, v86
	global_wb scope:SCOPE_SE
	s_wait_dscnt 0x0
	s_barrier_signal -1
	s_barrier_wait -1
	global_inv scope:SCOPE_SE
	v_mul_lo_u16 v0, 0xf1, v0
	s_mov_b32 s12, 0x523c161c
	s_mov_b32 s2, 0x8c811c17
	;; [unrolled: 1-line block ×4, first 2 shown]
	v_lshrrev_b16 v55, 12, v0
	s_mov_b32 s3, 0x3fef838b
	s_mov_b32 s7, 0x3fe8836f
	;; [unrolled: 1-line block ×3, first 2 shown]
	s_wait_alu 0xfffe
	s_mov_b32 s10, s12
	v_mul_lo_u16 v0, v55, 17
	s_mov_b32 s18, 0x7e0b738b
	s_mov_b32 s19, 0x3fc63a1a
	;; [unrolled: 1-line block ×4, first 2 shown]
	v_sub_nc_u16 v0, v86, v0
	s_mov_b32 s15, 0xbfebb67a
	s_wait_alu 0xfffe
	s_mov_b32 s14, s16
	s_mov_b32 s22, 0x748a0bf8
	;; [unrolled: 1-line block ×3, first 2 shown]
	v_and_b32_e32 v94, 0xff, v0
	s_mov_b32 s23, 0x3fd5e3a8
	s_mov_b32 s21, 0xbfee11f6
	v_cmp_gt_u32_e64 s0, 51, v86
	s_delay_alu instid0(VALU_DEP_2)
	v_lshlrev_b32_e32 v0, 7, v94
	s_clause 0x7
	global_load_b128 v[6:9], v0, s[4:5]
	global_load_b128 v[10:13], v0, s[4:5] offset:16
	global_load_b128 v[14:17], v0, s[4:5] offset:48
	;; [unrolled: 1-line block ×7, first 2 shown]
	ds_load_2addr_b64 v[0:3], v116 offset1:102
	ds_load_2addr_b64 v[62:65], v87 offset0:76 offset1:178
	ds_load_2addr_b64 v[26:29], v36 offset0:152 offset1:254
	;; [unrolled: 1-line block ×3, first 2 shown]
	ds_load_b64 v[18:19], v116 offset:6528
	global_wb scope:SCOPE_SE
	s_wait_loadcnt_dscnt 0x0
	s_barrier_signal -1
	s_barrier_wait -1
	global_inv scope:SCOPE_SE
	v_mul_f64_e32 v[20:21], v[2:3], v[8:9]
	v_mul_f64_e32 v[24:25], v[62:63], v[12:13]
	;; [unrolled: 1-line block ×12, first 2 shown]
	v_fma_f64 v[30:31], v[70:71], v[6:7], -v[20:21]
	v_fma_f64 v[24:25], v[72:73], v[10:11], -v[24:25]
	v_fma_f64 v[20:21], v[26:27], v[14:15], v[32:33]
	v_fma_f64 v[26:27], v[18:19], v[37:38], v[34:35]
	;; [unrolled: 1-line block ×3, first 2 shown]
	v_fma_f64 v[28:29], v[78:79], v[45:46], -v[66:67]
	v_fma_f64 v[32:33], v[80:81], v[14:15], -v[16:17]
	;; [unrolled: 1-line block ×3, first 2 shown]
	v_fma_f64 v[22:23], v[2:3], v[6:7], v[8:9]
	v_fma_f64 v[40:41], v[4:5], v[37:38], -v[39:40]
	v_mul_f64_e32 v[2:3], v[64:65], v[51:52]
	v_mul_f64_e32 v[6:7], v[90:91], v[60:61]
	;; [unrolled: 1-line block ×4, first 2 shown]
	v_fma_f64 v[36:37], v[62:63], v[10:11], v[12:13]
	v_fma_f64 v[38:39], v[92:93], v[45:46], v[47:48]
	v_add_f64_e64 v[12:13], v[20:21], -v[18:19]
	v_add_f64_e32 v[14:15], v[24:25], v[28:29]
	v_add_f64_e32 v[16:17], v[32:33], v[34:35]
	v_add_f64_e64 v[10:11], v[22:23], -v[26:27]
	v_add_f64_e32 v[51:52], v[30:31], v[40:41]
	v_fma_f64 v[42:43], v[74:75], v[49:50], -v[2:3]
	v_fma_f64 v[44:45], v[76:77], v[58:59], -v[6:7]
	v_fma_f64 v[46:47], v[64:65], v[49:50], v[4:5]
	v_fma_f64 v[48:49], v[90:91], v[58:59], v[8:9]
	v_add_nc_u32_e32 v50, 0xc00, v116
	v_add_f64_e64 v[2:3], v[36:37], -v[38:39]
	v_mul_f64_e32 v[6:7], s[10:11], v[12:13]
	v_mul_f64_e32 v[8:9], s[2:3], v[12:13]
	v_fma_f64 v[53:54], v[14:15], s[6:7], v[68:69]
	v_fma_f64 v[58:59], v[16:17], s[6:7], v[68:69]
	v_mul_f64_e32 v[4:5], s[12:13], v[10:11]
	v_fma_f64 v[60:61], v[51:52], s[6:7], v[68:69]
	v_add_f64_e32 v[64:65], v[14:15], v[51:52]
	v_add_f64_e32 v[62:63], v[42:43], v[44:45]
	;; [unrolled: 1-line block ×3, first 2 shown]
	v_add_f64_e64 v[66:67], v[46:47], -v[48:49]
	v_fma_f64 v[6:7], v[10:11], s[2:3], v[6:7]
	v_fma_f64 v[8:9], v[2:3], s[10:11], -v[8:9]
	v_fma_f64 v[53:54], v[16:17], s[18:19], v[53:54]
	v_fma_f64 v[58:59], v[51:52], s[18:19], v[58:59]
	;; [unrolled: 1-line block ×4, first 2 shown]
	v_add_f64_e32 v[74:75], v[16:17], v[64:65]
	v_add_f64_e32 v[64:65], v[62:63], v[64:65]
	;; [unrolled: 1-line block ×3, first 2 shown]
	s_wait_alu 0xfffe
	v_fma_f64 v[6:7], v[66:67], s[14:15], v[6:7]
	v_fma_f64 v[8:9], v[66:67], s[16:17], v[8:9]
	v_fma_f64 v[53:54], v[62:63], -0.5, v[53:54]
	v_fma_f64 v[58:59], v[62:63], -0.5, v[58:59]
	v_fma_f64 v[4:5], v[66:67], s[16:17], v[4:5]
	v_fma_f64 v[60:61], v[62:63], -0.5, v[60:61]
	v_add_f64_e64 v[62:63], v[70:71], -v[2:3]
	v_add_f64_e32 v[64:65], v[32:33], v[64:65]
	v_fma_f64 v[66:67], v[74:75], -0.5, v[72:73]
	v_fma_f64 v[2:3], v[2:3], s[22:23], v[6:7]
	v_fma_f64 v[6:7], v[10:11], s[22:23], v[8:9]
	;; [unrolled: 1-line block ×6, first 2 shown]
	v_mul_f64_e32 v[14:15], s[16:17], v[62:63]
	v_add_f64_e32 v[16:17], v[34:35], v[64:65]
	v_fma_f64 v[52:53], v[62:63], s[16:17], v[66:67]
	v_add_f64_e32 v[8:9], v[6:7], v[8:9]
	v_add_f64_e32 v[10:11], v[2:3], v[10:11]
	;; [unrolled: 1-line block ×4, first 2 shown]
	v_fma_f64 v[14:15], v[14:15], -2.0, v[52:53]
	v_fma_f64 v[6:7], v[6:7], -2.0, v[8:9]
	;; [unrolled: 1-line block ×4, first 2 shown]
	v_and_b32_e32 v4, 0xffff, v55
	v_lshlrev_b32_e32 v5, 3, v94
	s_delay_alu instid0(VALU_DEP_2) | instskip(NEXT) | instid1(VALU_DEP_1)
	v_mul_u32_u24_e32 v4, 0x4c8, v4
	v_add3_u32 v51, 0, v4, v5
	ds_store_2addr_b64 v51, v[16:17], v[12:13] offset1:17
	ds_store_2addr_b64 v51, v[10:11], v[52:53] offset0:34 offset1:51
	ds_store_2addr_b64 v51, v[8:9], v[6:7] offset0:68 offset1:85
	;; [unrolled: 1-line block ×3, first 2 shown]
	ds_store_b64 v51, v[58:59] offset:1088
	global_wb scope:SCOPE_SE
	s_wait_dscnt 0x0
	s_barrier_signal -1
	s_barrier_wait -1
	global_inv scope:SCOPE_SE
	ds_load_2addr_b64 v[10:13], v116 offset1:102
	ds_load_2addr_b64 v[6:9], v50 offset0:75 offset1:177
	ds_load_2addr_b64 v[14:17], v87 offset0:76 offset1:178
	;; [unrolled: 1-line block ×3, first 2 shown]
	s_and_saveexec_b32 s1, s0
	s_cbranch_execz .LBB0_17
; %bb.16:
	ds_load_b64 v[58:59], v116 offset:3264
	ds_load_b64 v[88:89], v116 offset:6936
.LBB0_17:
	s_wait_alu 0xfffe
	s_or_b32 exec_lo, exec_lo, s1
	v_add_f64_e64 v[32:33], v[32:33], -v[34:35]
	v_add_f64_e32 v[34:35], v[36:37], v[38:39]
	v_add_f64_e64 v[30:31], v[30:31], -v[40:41]
	v_add_f64_e32 v[36:37], v[20:21], v[18:19]
	v_add_f64_e32 v[22:23], v[22:23], v[26:27]
	v_add_f64_e64 v[24:25], v[24:25], -v[28:29]
	v_add_f64_e32 v[46:47], v[46:47], v[48:49]
	v_add_f64_e64 v[42:43], v[42:43], -v[44:45]
	global_wb scope:SCOPE_SE
	s_wait_dscnt 0x0
	s_barrier_signal -1
	s_barrier_wait -1
	global_inv scope:SCOPE_SE
	v_mul_f64_e32 v[28:29], s[10:11], v[32:33]
	v_mul_f64_e32 v[38:39], s[2:3], v[32:33]
	v_fma_f64 v[40:41], v[34:35], s[6:7], v[0:1]
	v_mul_f64_e32 v[26:27], s[12:13], v[30:31]
	v_fma_f64 v[52:53], v[36:37], s[6:7], v[0:1]
	v_fma_f64 v[54:55], v[22:23], s[6:7], v[0:1]
	v_add_f64_e32 v[48:49], v[34:35], v[22:23]
	v_add_f64_e32 v[60:61], v[0:1], v[46:47]
	v_fma_f64 v[28:29], v[30:31], s[2:3], v[28:29]
	v_fma_f64 v[38:39], v[24:25], s[10:11], -v[38:39]
	v_fma_f64 v[40:41], v[36:37], s[18:19], v[40:41]
	v_fma_f64 v[26:27], v[24:25], s[2:3], v[26:27]
	;; [unrolled: 1-line block ×4, first 2 shown]
	v_add_f64_e32 v[62:63], v[36:37], v[48:49]
	v_add_f64_e32 v[48:49], v[46:47], v[48:49]
	;; [unrolled: 1-line block ×3, first 2 shown]
	v_fma_f64 v[28:29], v[42:43], s[14:15], v[28:29]
	v_fma_f64 v[38:39], v[42:43], s[16:17], v[38:39]
	v_fma_f64 v[40:41], v[46:47], -0.5, v[40:41]
	v_fma_f64 v[26:27], v[42:43], s[16:17], v[26:27]
	v_fma_f64 v[42:43], v[46:47], -0.5, v[44:45]
	v_fma_f64 v[44:45], v[46:47], -0.5, v[52:53]
	;; [unrolled: 1-line block ×3, first 2 shown]
	v_add_f64_e32 v[20:21], v[20:21], v[48:49]
	v_add_f64_e64 v[46:47], v[54:55], -v[24:25]
	v_fma_f64 v[24:25], v[24:25], s[22:23], v[28:29]
	v_fma_f64 v[28:29], v[30:31], s[22:23], v[38:39]
	;; [unrolled: 1-line block ×6, first 2 shown]
	v_add_f64_e32 v[18:19], v[18:19], v[20:21]
	v_mul_f64_e32 v[34:35], s[16:17], v[46:47]
	v_fma_f64 v[20:21], v[46:47], s[14:15], v[52:53]
	v_add_f64_e64 v[22:23], v[22:23], -v[28:29]
	v_add_f64_e64 v[30:31], v[30:31], -v[24:25]
	;; [unrolled: 1-line block ×3, first 2 shown]
	v_add_f64_e32 v[0:1], v[0:1], v[18:19]
	v_fma_f64 v[18:19], v[34:35], 2.0, v[20:21]
	v_add_nc_u32_e32 v34, 0x400, v116
	v_add_nc_u32_e32 v35, 0x1000, v116
	v_fma_f64 v[28:29], v[28:29], 2.0, v[22:23]
	v_fma_f64 v[24:25], v[24:25], 2.0, v[30:31]
	;; [unrolled: 1-line block ×3, first 2 shown]
	ds_store_2addr_b64 v51, v[0:1], v[32:33] offset1:17
	ds_store_2addr_b64 v51, v[30:31], v[20:21] offset0:34 offset1:51
	ds_store_2addr_b64 v51, v[22:23], v[28:29] offset0:68 offset1:85
	;; [unrolled: 1-line block ×3, first 2 shown]
	ds_store_b64 v51, v[60:61] offset:1088
	global_wb scope:SCOPE_SE
	s_wait_dscnt 0x0
	s_barrier_signal -1
	s_barrier_wait -1
	global_inv scope:SCOPE_SE
	ds_load_2addr_b64 v[18:21], v116 offset1:102
	ds_load_2addr_b64 v[26:29], v50 offset0:75 offset1:177
	ds_load_2addr_b64 v[22:25], v34 offset0:76 offset1:178
	ds_load_2addr_b64 v[30:33], v35 offset0:151 offset1:253
	s_and_saveexec_b32 s1, s0
	s_cbranch_execz .LBB0_19
; %bb.18:
	ds_load_b64 v[60:61], v116 offset:3264
	ds_load_b64 v[56:57], v116 offset:6936
.LBB0_19:
	s_wait_alu 0xfffe
	s_or_b32 exec_lo, exec_lo, s1
	v_dual_mov_b32 v87, 0 :: v_dual_add_nc_u32 v36, 0x132, v86
	v_add_nc_u32_e32 v62, 0x66, v86
	v_subrev_nc_u32_e32 v1, 51, v86
	s_delay_alu instid0(VALU_DEP_3) | instskip(NEXT) | instid1(VALU_DEP_4)
	v_and_b32_e32 v0, 0xffff, v36
	v_lshlrev_b64_e32 v[54:55], 4, v[86:87]
	s_delay_alu instid0(VALU_DEP_2) | instskip(NEXT) | instid1(VALU_DEP_1)
	v_mul_u32_u24_e32 v0, 0x358b, v0
	v_lshrrev_b32_e32 v34, 21, v0
	v_cndmask_b32_e64 v0, v1, v62, s0
	v_mov_b32_e32 v1, v87
	s_delay_alu instid0(VALU_DEP_3) | instskip(NEXT) | instid1(VALU_DEP_2)
	v_mul_lo_u16 v37, 0x99, v34
	v_lshlrev_b64_e32 v[34:35], 4, v[0:1]
	v_lshlrev_b32_e32 v0, 3, v0
	s_delay_alu instid0(VALU_DEP_3) | instskip(SKIP_3) | instid1(VALU_DEP_3)
	v_sub_nc_u16 v1, v36, v37
	v_add_co_u32 v36, s1, s4, v54
	s_wait_alu 0xf1ff
	v_add_co_ci_u32_e64 v37, s1, s5, v55, s1
	v_and_b32_e32 v1, 0xffff, v1
	v_add_co_u32 v34, s1, s4, v34
	s_wait_alu 0xf1ff
	v_add_co_ci_u32_e64 v35, s1, s5, v35, s1
	s_delay_alu instid0(VALU_DEP_3)
	v_lshlrev_b32_e32 v50, 4, v1
	v_cmp_lt_u32_e64 s1, 50, v86
	s_clause 0x3
	global_load_b128 v[38:41], v[36:37], off offset:2176
	global_load_b128 v[42:45], v[34:35], off offset:2176
	;; [unrolled: 1-line block ×3, first 2 shown]
	global_load_b128 v[50:53], v50, s[4:5] offset:2176
	v_add_nc_u32_e32 v34, 0x198, v86
	s_delay_alu instid0(VALU_DEP_1) | instskip(NEXT) | instid1(VALU_DEP_1)
	v_and_b32_e32 v35, 0xffff, v34
	v_mul_u32_u24_e32 v35, 0x358b, v35
	s_delay_alu instid0(VALU_DEP_1) | instskip(NEXT) | instid1(VALU_DEP_1)
	v_lshrrev_b32_e32 v35, 21, v35
	v_mul_lo_u16 v35, 0x99, v35
	s_delay_alu instid0(VALU_DEP_1) | instskip(NEXT) | instid1(VALU_DEP_1)
	v_sub_nc_u16 v34, v34, v35
	v_and_b32_e32 v75, 0xffff, v34
	s_delay_alu instid0(VALU_DEP_1)
	v_lshlrev_b32_e32 v34, 4, v75
	global_load_b128 v[34:37], v34, s[4:5] offset:2176
	global_wb scope:SCOPE_SE
	s_wait_loadcnt_dscnt 0x0
	s_barrier_signal -1
	s_barrier_wait -1
	global_inv scope:SCOPE_SE
	v_mul_f64_e32 v[63:64], v[26:27], v[40:41]
	v_mul_f64_e32 v[65:66], v[28:29], v[44:45]
	;; [unrolled: 1-line block ×4, first 2 shown]
	s_delay_alu instid0(VALU_DEP_4) | instskip(NEXT) | instid1(VALU_DEP_4)
	v_fma_f64 v[63:64], v[6:7], v[38:39], -v[63:64]
	v_fma_f64 v[65:66], v[8:9], v[42:43], -v[65:66]
	s_delay_alu instid0(VALU_DEP_4) | instskip(NEXT) | instid1(VALU_DEP_4)
	v_fma_f64 v[67:68], v[2:3], v[46:47], -v[67:68]
	v_fma_f64 v[69:70], v[4:5], v[50:51], -v[69:70]
	s_delay_alu instid0(VALU_DEP_4) | instskip(NEXT) | instid1(VALU_DEP_4)
	v_add_f64_e64 v[71:72], v[10:11], -v[63:64]
	v_add_f64_e64 v[73:74], v[12:13], -v[65:66]
	s_delay_alu instid0(VALU_DEP_4) | instskip(NEXT) | instid1(VALU_DEP_4)
	v_add_f64_e64 v[67:68], v[14:15], -v[67:68]
	v_add_f64_e64 v[69:70], v[16:17], -v[69:70]
	s_wait_alu 0xf1ff
	v_cndmask_b32_e64 v63, 0, 0x990, s1
	v_lshl_add_u32 v66, v1, 3, 0
	v_add_nc_u32_e32 v65, 0x800, v116
	s_delay_alu instid0(VALU_DEP_3) | instskip(SKIP_1) | instid1(VALU_DEP_4)
	v_add3_u32 v64, 0, v63, v0
	v_lshl_add_u32 v63, v75, 3, 0
	v_add_nc_u32_e32 v0, 0x1000, v66
	v_fma_f64 v[10:11], v[10:11], 2.0, -v[71:72]
	v_fma_f64 v[12:13], v[12:13], 2.0, -v[73:74]
	;; [unrolled: 1-line block ×4, first 2 shown]
	ds_store_2addr_b64 v116, v[10:11], v[71:72] offset1:153
	ds_store_2addr_b64 v64, v[12:13], v[73:74] offset1:153
	ds_store_2addr_b64 v65, v[14:15], v[67:68] offset0:101 offset1:254
	ds_store_2addr_b64 v0, v[16:17], v[69:70] offset0:100 offset1:253
	s_and_saveexec_b32 s1, s0
	s_cbranch_execz .LBB0_21
; %bb.20:
	v_mul_f64_e32 v[0:1], v[56:57], v[36:37]
	v_add_nc_u32_e32 v12, 0x1000, v63
	s_delay_alu instid0(VALU_DEP_2) | instskip(NEXT) | instid1(VALU_DEP_1)
	v_fma_f64 v[0:1], v[88:89], v[34:35], -v[0:1]
	v_add_f64_e64 v[0:1], v[58:59], -v[0:1]
	s_delay_alu instid0(VALU_DEP_1)
	v_fma_f64 v[10:11], v[58:59], 2.0, -v[0:1]
	ds_store_2addr_b64 v12, v[10:11], v[0:1] offset0:100 offset1:253
.LBB0_21:
	s_wait_alu 0xfffe
	s_or_b32 exec_lo, exec_lo, s1
	v_mul_f64_e32 v[0:1], v[6:7], v[40:41]
	v_mul_f64_e32 v[6:7], v[8:9], v[44:45]
	;; [unrolled: 1-line block ×4, first 2 shown]
	v_add_nc_u32_e32 v12, 0x1000, v116
	global_wb scope:SCOPE_SE
	s_wait_dscnt 0x0
	s_barrier_signal -1
	s_barrier_wait -1
	global_inv scope:SCOPE_SE
	v_fma_f64 v[0:1], v[26:27], v[38:39], v[0:1]
	v_fma_f64 v[6:7], v[28:29], v[42:43], v[6:7]
	;; [unrolled: 1-line block ×4, first 2 shown]
	v_add_nc_u32_e32 v38, 0x1000, v66
	v_add_f64_e64 v[26:27], v[18:19], -v[0:1]
	v_add_f64_e64 v[28:29], v[20:21], -v[6:7]
	;; [unrolled: 1-line block ×4, first 2 shown]
	v_add_nc_u32_e32 v4, 0x400, v116
	ds_load_2addr_b64 v[0:3], v116 offset1:102
	ds_load_2addr_b64 v[8:11], v65 offset0:152 offset1:254
	ds_load_b64 v[16:17], v116 offset:6528
	ds_load_2addr_b64 v[4:7], v4 offset0:76 offset1:178
	ds_load_2addr_b64 v[12:15], v12 offset0:100 offset1:202
	global_wb scope:SCOPE_SE
	s_wait_dscnt 0x0
	s_barrier_signal -1
	s_barrier_wait -1
	global_inv scope:SCOPE_SE
	v_fma_f64 v[18:19], v[18:19], 2.0, -v[26:27]
	v_fma_f64 v[20:21], v[20:21], 2.0, -v[28:29]
	;; [unrolled: 1-line block ×4, first 2 shown]
	ds_store_2addr_b64 v116, v[18:19], v[26:27] offset1:153
	ds_store_2addr_b64 v64, v[20:21], v[28:29] offset1:153
	ds_store_2addr_b64 v65, v[22:23], v[30:31] offset0:101 offset1:254
	ds_store_2addr_b64 v38, v[24:25], v[32:33] offset0:100 offset1:253
	s_and_saveexec_b32 s1, s0
	s_cbranch_execz .LBB0_23
; %bb.22:
	v_mul_f64_e32 v[18:19], v[88:89], v[36:37]
	v_add_nc_u32_e32 v22, 0x1000, v63
	s_delay_alu instid0(VALU_DEP_2) | instskip(NEXT) | instid1(VALU_DEP_1)
	v_fma_f64 v[18:19], v[56:57], v[34:35], v[18:19]
	v_add_f64_e64 v[18:19], v[60:61], -v[18:19]
	s_delay_alu instid0(VALU_DEP_1)
	v_fma_f64 v[20:21], v[60:61], 2.0, -v[18:19]
	ds_store_2addr_b64 v22, v[20:21], v[18:19] offset0:100 offset1:253
.LBB0_23:
	s_wait_alu 0xfffe
	s_or_b32 exec_lo, exec_lo, s1
	global_wb scope:SCOPE_SE
	s_wait_dscnt 0x0
	s_barrier_signal -1
	s_barrier_wait -1
	global_inv scope:SCOPE_SE
	s_and_saveexec_b32 s0, vcc_lo
	s_cbranch_execz .LBB0_25
; %bb.24:
	v_dual_mov_b32 v57, 0 :: v_dual_add_nc_u32 v72, 0xcc, v86
	v_add_nc_u32_e32 v42, 0x800, v116
	v_add_nc_u32_e32 v46, 0x1000, v116
	v_add_nc_u32_e32 v50, 0x400, v116
	s_delay_alu instid0(VALU_DEP_4)
	v_lshlrev_b32_e32 v56, 1, v72
	s_mov_b32 s0, 0xe8584caa
	s_mov_b32 s1, 0x3febb67a
	;; [unrolled: 1-line block ×3, first 2 shown]
	s_wait_alu 0xfffe
	s_mov_b32 s2, s0
	v_lshlrev_b64_e32 v[18:19], 4, v[56:57]
	v_lshlrev_b32_e32 v56, 1, v62
	s_delay_alu instid0(VALU_DEP_1) | instskip(SKIP_1) | instid1(VALU_DEP_4)
	v_lshlrev_b64_e32 v[26:27], 4, v[56:57]
	v_lshlrev_b32_e32 v56, 1, v86
	v_add_co_u32 v22, vcc_lo, s4, v18
	s_wait_alu 0xfffd
	v_add_co_ci_u32_e32 v23, vcc_lo, s5, v19, vcc_lo
	s_delay_alu instid0(VALU_DEP_3)
	v_lshlrev_b64_e32 v[28:29], 4, v[56:57]
	v_add_co_u32 v30, vcc_lo, s4, v26
	s_wait_alu 0xfffd
	v_add_co_ci_u32_e32 v31, vcc_lo, s5, v27, vcc_lo
	s_clause 0x1
	global_load_b128 v[18:21], v[22:23], off offset:4640
	global_load_b128 v[22:25], v[22:23], off offset:4624
	v_add_co_u32 v38, vcc_lo, s4, v28
	s_wait_alu 0xfffd
	v_add_co_ci_u32_e32 v39, vcc_lo, s5, v29, vcc_lo
	s_clause 0x3
	global_load_b128 v[26:29], v[30:31], off offset:4624
	global_load_b128 v[30:33], v[30:31], off offset:4640
	;; [unrolled: 1-line block ×4, first 2 shown]
	ds_load_2addr_b64 v[42:45], v42 offset0:152 offset1:254
	ds_load_2addr_b64 v[46:49], v46 offset0:100 offset1:202
	;; [unrolled: 1-line block ×3, first 2 shown]
	ds_load_b64 v[58:59], v116 offset:6528
	s_wait_loadcnt 0x5
	v_mul_f64_e32 v[62:63], v[16:17], v[20:21]
	s_wait_loadcnt 0x4
	v_mul_f64_e32 v[60:61], v[10:11], v[24:25]
	s_wait_dscnt 0x3
	v_mul_f64_e32 v[24:25], v[44:45], v[24:25]
	s_wait_dscnt 0x0
	v_mul_f64_e32 v[20:21], v[58:59], v[20:21]
	s_wait_loadcnt 0x3
	v_mul_f64_e32 v[64:65], v[42:43], v[28:29]
	s_wait_loadcnt 0x2
	v_mul_f64_e32 v[66:67], v[48:49], v[32:33]
	v_mul_f64_e32 v[28:29], v[8:9], v[28:29]
	;; [unrolled: 1-line block ×3, first 2 shown]
	s_wait_loadcnt 0x1
	v_mul_f64_e32 v[68:69], v[52:53], v[36:37]
	v_mul_f64_e32 v[36:37], v[6:7], v[36:37]
	s_wait_loadcnt 0x0
	v_mul_f64_e32 v[70:71], v[12:13], v[40:41]
	v_mul_f64_e32 v[40:41], v[46:47], v[40:41]
	v_fma_f64 v[58:59], v[18:19], v[58:59], v[62:63]
	v_fma_f64 v[44:45], v[22:23], v[44:45], v[60:61]
	v_fma_f64 v[10:11], v[10:11], v[22:23], -v[24:25]
	v_fma_f64 v[16:17], v[16:17], v[18:19], -v[20:21]
	;; [unrolled: 1-line block ×4, first 2 shown]
	v_fma_f64 v[26:27], v[26:27], v[42:43], v[28:29]
	v_fma_f64 v[28:29], v[30:31], v[48:49], v[32:33]
	v_fma_f64 v[30:31], v[6:7], v[34:35], -v[68:69]
	v_fma_f64 v[32:33], v[34:35], v[52:53], v[36:37]
	v_fma_f64 v[34:35], v[38:39], v[46:47], v[70:71]
	v_fma_f64 v[12:13], v[12:13], v[38:39], -v[40:41]
	ds_load_2addr_b64 v[6:9], v116 offset1:102
	v_add_f64_e32 v[18:19], v[44:45], v[58:59]
	v_add_f64_e32 v[42:43], v[44:45], v[50:51]
	;; [unrolled: 1-line block ×3, first 2 shown]
	v_add_f64_e64 v[40:41], v[10:11], -v[16:17]
	v_add_f64_e32 v[22:23], v[60:61], v[14:15]
	v_add_f64_e32 v[10:11], v[4:5], v[10:11]
	;; [unrolled: 1-line block ×3, first 2 shown]
	v_add_f64_e64 v[46:47], v[60:61], -v[14:15]
	s_wait_dscnt 0x0
	v_add_f64_e32 v[48:49], v[26:27], v[8:9]
	v_add_f64_e32 v[24:25], v[32:33], v[34:35]
	;; [unrolled: 1-line block ×3, first 2 shown]
	v_add_f64_e64 v[52:53], v[26:27], -v[28:29]
	v_add_f64_e32 v[26:27], v[2:3], v[60:61]
	v_add_f64_e64 v[60:61], v[30:31], -v[12:13]
	v_add_f64_e32 v[62:63], v[32:33], v[6:7]
	v_add_f64_e32 v[30:31], v[0:1], v[30:31]
	v_add_f64_e64 v[32:33], v[32:33], -v[34:35]
	v_add_f64_e64 v[44:45], v[44:45], -v[58:59]
	v_fma_f64 v[50:51], v[18:19], -0.5, v[50:51]
	v_fma_f64 v[38:39], v[38:39], -0.5, v[4:5]
	;; [unrolled: 1-line block ×3, first 2 shown]
	v_add_f64_e32 v[2:3], v[58:59], v[42:43]
	v_fma_f64 v[20:21], v[20:21], -0.5, v[8:9]
	v_fma_f64 v[66:67], v[24:25], -0.5, v[6:7]
	;; [unrolled: 1-line block ×3, first 2 shown]
	v_add_f64_e32 v[0:1], v[10:11], v[16:17]
	v_add_f64_e32 v[6:7], v[28:29], v[48:49]
	;; [unrolled: 1-line block ×5, first 2 shown]
	s_wait_alu 0xfffe
	v_fma_f64 v[34:35], v[40:41], s[2:3], v[50:51]
	v_fma_f64 v[14:15], v[40:41], s[0:1], v[50:51]
	;; [unrolled: 1-line block ×12, first 2 shown]
	v_mul_hi_u32 v36, 0xd62b80d7, v72
	v_add_co_u32 v38, vcc_lo, s8, v84
	s_wait_alu 0xfffd
	v_add_co_ci_u32_e32 v39, vcc_lo, s9, v85, vcc_lo
	s_delay_alu instid0(VALU_DEP_2) | instskip(NEXT) | instid1(VALU_DEP_4)
	v_add_co_u32 v38, vcc_lo, v38, v54
	v_lshrrev_b32_e32 v36, 8, v36
	s_wait_alu 0xfffd
	s_delay_alu instid0(VALU_DEP_3) | instskip(NEXT) | instid1(VALU_DEP_2)
	v_add_co_ci_u32_e32 v39, vcc_lo, v39, v55, vcc_lo
	v_mul_u32_u24_e32 v56, 0x264, v36
	s_delay_alu instid0(VALU_DEP_1) | instskip(NEXT) | instid1(VALU_DEP_1)
	v_lshlrev_b64_e32 v[36:37], 4, v[56:57]
	v_add_co_u32 v36, vcc_lo, v38, v36
	s_wait_alu 0xfffd
	s_delay_alu instid0(VALU_DEP_2)
	v_add_co_ci_u32_e32 v37, vcc_lo, v39, v37, vcc_lo
	s_clause 0x8
	global_store_b128 v[38:39], v[8:11], off
	global_store_b128 v[38:39], v[4:7], off offset:1632
	global_store_b128 v[38:39], v[24:27], off offset:4896
	;; [unrolled: 1-line block ×8, first 2 shown]
.LBB0_25:
	s_nop 0
	s_sendmsg sendmsg(MSG_DEALLOC_VGPRS)
	s_endpgm
	.section	.rodata,"a",@progbits
	.p2align	6, 0x0
	.amdhsa_kernel fft_rtc_fwd_len918_factors_17_9_2_3_wgs_102_tpt_102_halfLds_dp_ip_CI_unitstride_sbrr_dirReg
		.amdhsa_group_segment_fixed_size 0
		.amdhsa_private_segment_fixed_size 0
		.amdhsa_kernarg_size 88
		.amdhsa_user_sgpr_count 2
		.amdhsa_user_sgpr_dispatch_ptr 0
		.amdhsa_user_sgpr_queue_ptr 0
		.amdhsa_user_sgpr_kernarg_segment_ptr 1
		.amdhsa_user_sgpr_dispatch_id 0
		.amdhsa_user_sgpr_private_segment_size 0
		.amdhsa_wavefront_size32 1
		.amdhsa_uses_dynamic_stack 0
		.amdhsa_enable_private_segment 0
		.amdhsa_system_sgpr_workgroup_id_x 1
		.amdhsa_system_sgpr_workgroup_id_y 0
		.amdhsa_system_sgpr_workgroup_id_z 0
		.amdhsa_system_sgpr_workgroup_info 0
		.amdhsa_system_vgpr_workitem_id 0
		.amdhsa_next_free_vgpr 212
		.amdhsa_next_free_sgpr 56
		.amdhsa_reserve_vcc 1
		.amdhsa_float_round_mode_32 0
		.amdhsa_float_round_mode_16_64 0
		.amdhsa_float_denorm_mode_32 3
		.amdhsa_float_denorm_mode_16_64 3
		.amdhsa_fp16_overflow 0
		.amdhsa_workgroup_processor_mode 1
		.amdhsa_memory_ordered 1
		.amdhsa_forward_progress 0
		.amdhsa_round_robin_scheduling 0
		.amdhsa_exception_fp_ieee_invalid_op 0
		.amdhsa_exception_fp_denorm_src 0
		.amdhsa_exception_fp_ieee_div_zero 0
		.amdhsa_exception_fp_ieee_overflow 0
		.amdhsa_exception_fp_ieee_underflow 0
		.amdhsa_exception_fp_ieee_inexact 0
		.amdhsa_exception_int_div_zero 0
	.end_amdhsa_kernel
	.text
.Lfunc_end0:
	.size	fft_rtc_fwd_len918_factors_17_9_2_3_wgs_102_tpt_102_halfLds_dp_ip_CI_unitstride_sbrr_dirReg, .Lfunc_end0-fft_rtc_fwd_len918_factors_17_9_2_3_wgs_102_tpt_102_halfLds_dp_ip_CI_unitstride_sbrr_dirReg
                                        ; -- End function
	.section	.AMDGPU.csdata,"",@progbits
; Kernel info:
; codeLenInByte = 10264
; NumSgprs: 58
; NumVgprs: 212
; ScratchSize: 0
; MemoryBound: 1
; FloatMode: 240
; IeeeMode: 1
; LDSByteSize: 0 bytes/workgroup (compile time only)
; SGPRBlocks: 7
; VGPRBlocks: 26
; NumSGPRsForWavesPerEU: 58
; NumVGPRsForWavesPerEU: 212
; Occupancy: 7
; WaveLimiterHint : 1
; COMPUTE_PGM_RSRC2:SCRATCH_EN: 0
; COMPUTE_PGM_RSRC2:USER_SGPR: 2
; COMPUTE_PGM_RSRC2:TRAP_HANDLER: 0
; COMPUTE_PGM_RSRC2:TGID_X_EN: 1
; COMPUTE_PGM_RSRC2:TGID_Y_EN: 0
; COMPUTE_PGM_RSRC2:TGID_Z_EN: 0
; COMPUTE_PGM_RSRC2:TIDIG_COMP_CNT: 0
	.text
	.p2alignl 7, 3214868480
	.fill 96, 4, 3214868480
	.type	__hip_cuid_5d6a78c06a4e8920,@object ; @__hip_cuid_5d6a78c06a4e8920
	.section	.bss,"aw",@nobits
	.globl	__hip_cuid_5d6a78c06a4e8920
__hip_cuid_5d6a78c06a4e8920:
	.byte	0                               ; 0x0
	.size	__hip_cuid_5d6a78c06a4e8920, 1

	.ident	"AMD clang version 19.0.0git (https://github.com/RadeonOpenCompute/llvm-project roc-6.4.0 25133 c7fe45cf4b819c5991fe208aaa96edf142730f1d)"
	.section	".note.GNU-stack","",@progbits
	.addrsig
	.addrsig_sym __hip_cuid_5d6a78c06a4e8920
	.amdgpu_metadata
---
amdhsa.kernels:
  - .args:
      - .actual_access:  read_only
        .address_space:  global
        .offset:         0
        .size:           8
        .value_kind:     global_buffer
      - .offset:         8
        .size:           8
        .value_kind:     by_value
      - .actual_access:  read_only
        .address_space:  global
        .offset:         16
        .size:           8
        .value_kind:     global_buffer
      - .actual_access:  read_only
        .address_space:  global
        .offset:         24
        .size:           8
        .value_kind:     global_buffer
      - .offset:         32
        .size:           8
        .value_kind:     by_value
      - .actual_access:  read_only
        .address_space:  global
        .offset:         40
        .size:           8
        .value_kind:     global_buffer
      - .actual_access:  read_only
        .address_space:  global
        .offset:         48
        .size:           8
        .value_kind:     global_buffer
      - .offset:         56
        .size:           4
        .value_kind:     by_value
      - .actual_access:  read_only
        .address_space:  global
        .offset:         64
        .size:           8
        .value_kind:     global_buffer
      - .actual_access:  read_only
        .address_space:  global
        .offset:         72
        .size:           8
        .value_kind:     global_buffer
      - .address_space:  global
        .offset:         80
        .size:           8
        .value_kind:     global_buffer
    .group_segment_fixed_size: 0
    .kernarg_segment_align: 8
    .kernarg_segment_size: 88
    .language:       OpenCL C
    .language_version:
      - 2
      - 0
    .max_flat_workgroup_size: 102
    .name:           fft_rtc_fwd_len918_factors_17_9_2_3_wgs_102_tpt_102_halfLds_dp_ip_CI_unitstride_sbrr_dirReg
    .private_segment_fixed_size: 0
    .sgpr_count:     58
    .sgpr_spill_count: 0
    .symbol:         fft_rtc_fwd_len918_factors_17_9_2_3_wgs_102_tpt_102_halfLds_dp_ip_CI_unitstride_sbrr_dirReg.kd
    .uniform_work_group_size: 1
    .uses_dynamic_stack: false
    .vgpr_count:     212
    .vgpr_spill_count: 0
    .wavefront_size: 32
    .workgroup_processor_mode: 1
amdhsa.target:   amdgcn-amd-amdhsa--gfx1201
amdhsa.version:
  - 1
  - 2
...

	.end_amdgpu_metadata
